;; amdgpu-corpus repo=ROCm/rocFFT kind=compiled arch=gfx90a opt=O3
	.text
	.amdgcn_target "amdgcn-amd-amdhsa--gfx90a"
	.amdhsa_code_object_version 6
	.protected	bluestein_single_fwd_len660_dim1_dp_op_CI_CI ; -- Begin function bluestein_single_fwd_len660_dim1_dp_op_CI_CI
	.globl	bluestein_single_fwd_len660_dim1_dp_op_CI_CI
	.p2align	8
	.type	bluestein_single_fwd_len660_dim1_dp_op_CI_CI,@function
bluestein_single_fwd_len660_dim1_dp_op_CI_CI: ; @bluestein_single_fwd_len660_dim1_dp_op_CI_CI
; %bb.0:
	s_load_dwordx4 s[0:3], s[4:5], 0x28
	v_mul_u32_u24_e32 v1, 0x254, v0
	v_add_u32_sdwa v238, s6, v1 dst_sel:DWORD dst_unused:UNUSED_PAD src0_sel:DWORD src1_sel:WORD_1
	v_mov_b32_e32 v239, 0
	s_waitcnt lgkmcnt(0)
	v_cmp_gt_u64_e32 vcc, s[0:1], v[238:239]
	s_and_saveexec_b64 s[0:1], vcc
	s_cbranch_execz .LBB0_23
; %bb.1:
	s_load_dwordx2 s[12:13], s[4:5], 0x0
	s_load_dwordx2 s[6:7], s[4:5], 0x38
	s_movk_i32 s0, 0x6e
	v_mul_lo_u16_sdwa v1, v1, s0 dst_sel:DWORD dst_unused:UNUSED_PAD src0_sel:WORD_1 src1_sel:DWORD
	v_sub_u16_e32 v239, v0, v1
	v_cmp_gt_u16_e64 s[0:1], 60, v239
	v_lshlrev_b32_e32 v117, 4, v239
	s_and_saveexec_b64 s[14:15], s[0:1]
	s_cbranch_execz .LBB0_3
; %bb.2:
	s_load_dwordx2 s[8:9], s[4:5], 0x18
	v_mov_b32_e32 v82, 0x3c0
	s_waitcnt lgkmcnt(0)
	s_load_dwordx4 s[8:11], s[8:9], 0x0
	s_waitcnt lgkmcnt(0)
	v_mad_u64_u32 v[0:1], s[16:17], s10, v238, 0
	v_mov_b32_e32 v4, v1
	v_mad_u64_u32 v[2:3], s[16:17], s8, v239, 0
	v_mad_u64_u32 v[4:5], s[10:11], s11, v238, v[4:5]
	v_mov_b32_e32 v6, v3
	v_mov_b32_e32 v1, v4
	v_mad_u64_u32 v[6:7], s[10:11], s9, v239, v[6:7]
	v_lshlrev_b64 v[0:1], 4, v[0:1]
	v_mov_b32_e32 v3, v6
	v_mov_b32_e32 v4, s3
	v_add_co_u32_e32 v5, vcc, s2, v0
	v_addc_co_u32_e32 v6, vcc, v4, v1, vcc
	v_lshlrev_b64 v[0:1], 4, v[2:3]
	v_add_co_u32_e32 v4, vcc, v5, v0
	v_addc_co_u32_e32 v5, vcc, v6, v1, vcc
	v_mad_u64_u32 v[20:21], s[2:3], s8, v82, v[4:5]
	s_mul_i32 s2, s9, 0x3c0
	v_add_u32_e32 v21, s2, v21
	global_load_dwordx4 v[0:3], v[4:5], off
	v_mov_b32_e32 v6, s13
	v_add_co_u32_e32 v76, vcc, s12, v117
	v_mad_u64_u32 v[22:23], s[10:11], s8, v82, v[20:21]
	v_addc_co_u32_e32 v77, vcc, 0, v6, vcc
	global_load_dwordx4 v[4:7], v117, s[12:13]
	global_load_dwordx4 v[8:11], v117, s[12:13] offset:960
	v_add_u32_e32 v23, s2, v23
	global_load_dwordx4 v[16:19], v[20:21], off
	global_load_dwordx4 v[12:15], v[22:23], off
	v_mad_u64_u32 v[40:41], s[10:11], s8, v82, v[22:23]
	v_add_u32_e32 v41, s2, v41
	global_load_dwordx4 v[20:23], v117, s[12:13] offset:1920
	global_load_dwordx4 v[24:27], v117, s[12:13] offset:2880
	v_mad_u64_u32 v[42:43], s[10:11], s8, v82, v[40:41]
	v_add_u32_e32 v43, s2, v43
	v_mad_u64_u32 v[44:45], s[10:11], s8, v82, v[42:43]
	global_load_dwordx4 v[28:31], v[40:41], off
	global_load_dwordx4 v[32:35], v[42:43], off
	global_load_dwordx4 v[36:39], v117, s[12:13] offset:3840
	v_add_u32_e32 v45, s2, v45
	s_movk_i32 s3, 0x1000
	v_mad_u64_u32 v[56:57], s[10:11], s8, v82, v[44:45]
	global_load_dwordx4 v[40:43], v[44:45], off
	v_add_co_u32_e32 v72, vcc, s3, v76
	v_add_u32_e32 v57, s2, v57
	v_addc_co_u32_e32 v73, vcc, 0, v77, vcc
	global_load_dwordx4 v[44:47], v[56:57], off
	global_load_dwordx4 v[48:51], v[72:73], off offset:704
	global_load_dwordx4 v[52:55], v[72:73], off offset:1664
	v_mad_u64_u32 v[60:61], s[10:11], s8, v82, v[56:57]
	v_add_u32_e32 v61, s2, v61
	v_mad_u64_u32 v[74:75], s[10:11], s8, v82, v[60:61]
	global_load_dwordx4 v[56:59], v[60:61], off
	v_add_u32_e32 v75, s2, v75
	global_load_dwordx4 v[60:63], v[74:75], off
	global_load_dwordx4 v[64:67], v[72:73], off offset:2624
	global_load_dwordx4 v[68:71], v[72:73], off offset:3584
	s_movk_i32 s3, 0x2000
	v_mad_u64_u32 v[80:81], s[10:11], s8, v82, v[74:75]
	v_add_co_u32_e32 v88, vcc, s3, v76
	v_add_u32_e32 v81, s2, v81
	v_addc_co_u32_e32 v89, vcc, 0, v77, vcc
	global_load_dwordx4 v[72:75], v[80:81], off
	global_load_dwordx4 v[76:79], v[88:89], off offset:448
	v_mad_u64_u32 v[90:91], s[8:9], s8, v82, v[80:81]
	v_add_u32_e32 v91, s2, v91
	global_load_dwordx4 v[80:83], v[88:89], off offset:1408
	global_load_dwordx4 v[84:87], v[90:91], off
	s_waitcnt vmcnt(20)
	v_mul_f64 v[88:89], v[2:3], v[6:7]
	v_mul_f64 v[6:7], v[0:1], v[6:7]
	v_fmac_f64_e32 v[88:89], v[0:1], v[4:5]
	v_fma_f64 v[90:91], v[2:3], v[4:5], -v[6:7]
	s_waitcnt vmcnt(18)
	v_mul_f64 v[0:1], v[18:19], v[10:11]
	v_mul_f64 v[2:3], v[16:17], v[10:11]
	v_fmac_f64_e32 v[0:1], v[16:17], v[8:9]
	v_fma_f64 v[2:3], v[18:19], v[8:9], -v[2:3]
	ds_write_b128 v117, v[0:3] offset:960
	s_waitcnt vmcnt(16)
	v_mul_f64 v[0:1], v[14:15], v[22:23]
	v_mul_f64 v[2:3], v[12:13], v[22:23]
	v_fmac_f64_e32 v[0:1], v[12:13], v[20:21]
	v_fma_f64 v[2:3], v[14:15], v[20:21], -v[2:3]
	ds_write_b128 v117, v[0:3] offset:1920
	;; [unrolled: 6-line block ×9, first 2 shown]
	s_waitcnt vmcnt(0)
	v_mul_f64 v[0:1], v[86:87], v[82:83]
	v_mul_f64 v[2:3], v[84:85], v[82:83]
	v_fmac_f64_e32 v[0:1], v[84:85], v[80:81]
	v_fma_f64 v[2:3], v[86:87], v[80:81], -v[2:3]
	ds_write_b128 v117, v[88:91]
	ds_write_b128 v117, v[0:3] offset:9600
.LBB0_3:
	s_or_b64 exec, exec, s[14:15]
	s_load_dwordx2 s[2:3], s[4:5], 0x20
	s_load_dwordx2 s[14:15], s[4:5], 0x8
	s_waitcnt lgkmcnt(0)
	s_barrier
	s_waitcnt lgkmcnt(0)
                                        ; implicit-def: $vgpr4_vgpr5
                                        ; implicit-def: $vgpr8_vgpr9
                                        ; implicit-def: $vgpr12_vgpr13
                                        ; implicit-def: $vgpr16_vgpr17
                                        ; implicit-def: $vgpr20_vgpr21
                                        ; implicit-def: $vgpr24_vgpr25
                                        ; implicit-def: $vgpr28_vgpr29
                                        ; implicit-def: $vgpr32_vgpr33
                                        ; implicit-def: $vgpr36_vgpr37
                                        ; implicit-def: $vgpr40_vgpr41
                                        ; implicit-def: $vgpr44_vgpr45
	s_and_saveexec_b64 s[4:5], s[0:1]
	s_cbranch_execz .LBB0_5
; %bb.4:
	ds_read_b128 v[4:7], v117
	ds_read_b128 v[8:11], v117 offset:960
	ds_read_b128 v[12:15], v117 offset:1920
	;; [unrolled: 1-line block ×10, first 2 shown]
.LBB0_5:
	s_or_b64 exec, exec, s[4:5]
	s_waitcnt lgkmcnt(0)
	v_add_f64 v[74:75], v[10:11], -v[46:47]
	s_mov_b32 s8, 0xd9c712b6
	s_mov_b32 s19, 0xbfed1bb4
	;; [unrolled: 1-line block ×3, first 2 shown]
	v_add_f64 v[94:95], v[8:9], v[44:45]
	v_add_f64 v[72:73], v[8:9], -v[44:45]
	s_mov_b32 s9, 0x3fda9628
	v_mul_f64 v[52:53], v[74:75], s[18:19]
	s_mov_b32 s22, 0x43842ef
	v_add_f64 v[96:97], v[10:11], v[46:47]
	v_mul_f64 v[54:55], v[72:73], s[18:19]
	v_fma_f64 v[56:57], s[8:9], v[94:95], v[52:53]
	s_mov_b32 s10, 0x640f44db
	s_mov_b32 s23, 0xbfefac9e
	;; [unrolled: 1-line block ×3, first 2 shown]
	v_add_f64 v[60:61], v[4:5], v[56:57]
	v_fma_f64 v[56:57], v[96:97], s[8:9], -v[54:55]
	s_mov_b32 s11, 0xbfc2375f
	v_mul_f64 v[58:59], v[74:75], s[22:23]
	s_mov_b32 s4, 0x8764f0ba
	s_mov_b32 s25, 0xbfe14ced
	v_add_f64 v[62:63], v[6:7], v[56:57]
	v_mul_f64 v[78:79], v[72:73], s[22:23]
	v_fma_f64 v[56:57], s[10:11], v[94:95], v[58:59]
	s_mov_b32 s5, 0x3feaeb8c
	v_mul_f64 v[48:49], v[74:75], s[24:25]
	v_add_f64 v[64:65], v[4:5], v[56:57]
	v_fma_f64 v[56:57], v[96:97], s[10:11], -v[78:79]
	v_add_f64 v[168:169], v[14:15], -v[42:43]
	v_mul_f64 v[50:51], v[72:73], s[24:25]
	v_fma_f64 v[0:1], s[4:5], v[94:95], v[48:49]
	v_add_f64 v[66:67], v[6:7], v[56:57]
	s_mov_b32 s26, 0xbb3a28a1
	v_add_f64 v[124:125], v[12:13], v[40:41]
	v_add_f64 v[170:171], v[12:13], -v[40:41]
	v_mul_f64 v[56:57], v[168:169], s[18:19]
	v_add_f64 v[0:1], v[4:5], v[0:1]
	v_fma_f64 v[2:3], v[96:97], s[4:5], -v[50:51]
	s_mov_b32 s16, 0x7f775887
	s_mov_b32 s27, 0xbfe82f19
	v_add_f64 v[126:127], v[14:15], v[42:43]
	v_mul_f64 v[76:77], v[170:171], s[18:19]
	v_fma_f64 v[68:69], s[8:9], v[124:125], v[56:57]
	v_add_f64 v[2:3], v[6:7], v[2:3]
	s_mov_b32 s17, 0xbfe4f49e
	s_mov_b32 s28, 0xfd768dbf
	v_add_f64 v[0:1], v[68:69], v[0:1]
	v_fma_f64 v[68:69], v[126:127], s[8:9], -v[76:77]
	v_mul_f64 v[80:81], v[168:169], s[26:27]
	s_mov_b32 s20, 0x9bcd5057
	s_mov_b32 s29, 0xbfd207e7
	v_add_f64 v[2:3], v[68:69], v[2:3]
	v_mul_f64 v[82:83], v[170:171], s[26:27]
	v_fma_f64 v[68:69], s[16:17], v[124:125], v[80:81]
	s_mov_b32 s37, 0x3fd207e7
	s_mov_b32 s36, s28
	;; [unrolled: 1-line block ×3, first 2 shown]
	v_add_f64 v[60:61], v[68:69], v[60:61]
	v_fma_f64 v[68:69], v[126:127], s[16:17], -v[82:83]
	v_mul_f64 v[90:91], v[168:169], s[36:37]
	v_add_f64 v[62:63], v[68:69], v[62:63]
	v_mul_f64 v[98:99], v[170:171], s[36:37]
	v_fma_f64 v[68:69], s[20:21], v[124:125], v[90:91]
	v_add_f64 v[178:179], v[18:19], -v[38:39]
	v_add_f64 v[64:65], v[68:69], v[64:65]
	v_fma_f64 v[68:69], v[126:127], s[20:21], -v[98:99]
	v_add_f64 v[134:135], v[16:17], v[36:37]
	v_add_f64 v[172:173], v[16:17], -v[36:37]
	v_mul_f64 v[84:85], v[178:179], s[22:23]
	v_add_f64 v[66:67], v[68:69], v[66:67]
	v_add_f64 v[136:137], v[18:19], v[38:39]
	v_mul_f64 v[88:89], v[172:173], s[22:23]
	v_fma_f64 v[68:69], s[10:11], v[134:135], v[84:85]
	v_add_f64 v[0:1], v[68:69], v[0:1]
	v_fma_f64 v[68:69], v[136:137], s[10:11], -v[88:89]
	v_mul_f64 v[92:93], v[178:179], s[36:37]
	v_add_f64 v[2:3], v[68:69], v[2:3]
	v_mul_f64 v[102:103], v[172:173], s[36:37]
	v_fma_f64 v[68:69], s[20:21], v[134:135], v[92:93]
	s_mov_b32 s19, 0x3fed1bb4
	v_add_f64 v[60:61], v[68:69], v[60:61]
	v_fma_f64 v[68:69], v[136:137], s[20:21], -v[102:103]
	v_mul_f64 v[106:107], v[178:179], s[18:19]
	v_add_f64 v[62:63], v[68:69], v[62:63]
	v_mul_f64 v[112:113], v[172:173], s[18:19]
	v_fma_f64 v[68:69], s[8:9], v[134:135], v[106:107]
	v_add_f64 v[184:185], v[22:23], -v[34:35]
	v_add_f64 v[64:65], v[68:69], v[64:65]
	v_fma_f64 v[68:69], v[136:137], s[8:9], -v[112:113]
	v_add_f64 v[142:143], v[20:21], v[32:33]
	v_add_f64 v[182:183], v[20:21], -v[32:33]
	v_mul_f64 v[100:101], v[184:185], s[26:27]
	s_mov_b32 s35, 0x3fefac9e
	s_mov_b32 s34, s22
	v_add_f64 v[66:67], v[68:69], v[66:67]
	v_add_f64 v[144:145], v[22:23], v[34:35]
	v_mul_f64 v[104:105], v[182:183], s[26:27]
	v_fma_f64 v[68:69], s[16:17], v[142:143], v[100:101]
	v_add_f64 v[0:1], v[68:69], v[0:1]
	v_fma_f64 v[68:69], v[144:145], s[16:17], -v[104:105]
	v_mul_f64 v[108:109], v[184:185], s[34:35]
	v_add_f64 v[2:3], v[68:69], v[2:3]
	v_mul_f64 v[114:115], v[182:183], s[34:35]
	v_fma_f64 v[68:69], s[10:11], v[142:143], v[108:109]
	v_add_f64 v[60:61], v[68:69], v[60:61]
	v_fma_f64 v[68:69], v[144:145], s[10:11], -v[114:115]
	v_mul_f64 v[120:121], v[184:185], s[24:25]
	v_add_f64 v[62:63], v[68:69], v[62:63]
	v_mul_f64 v[128:129], v[182:183], s[24:25]
	v_fma_f64 v[68:69], s[4:5], v[142:143], v[120:121]
	v_add_f64 v[188:189], v[26:27], -v[30:31]
	v_add_f64 v[68:69], v[68:69], v[64:65]
	v_fma_f64 v[64:65], v[144:145], s[4:5], -v[128:129]
	v_add_f64 v[146:147], v[24:25], v[28:29]
	v_add_f64 v[186:187], v[24:25], -v[28:29]
	v_mul_f64 v[110:111], v[188:189], s[28:29]
	s_mov_b32 s31, 0x3fe14ced
	s_mov_b32 s30, s24
	v_add_f64 v[70:71], v[64:65], v[66:67]
	v_add_f64 v[150:151], v[26:27], v[30:31]
	v_mul_f64 v[118:119], v[186:187], s[28:29]
	v_fma_f64 v[64:65], s[20:21], v[146:147], v[110:111]
	v_add_f64 v[0:1], v[64:65], v[0:1]
	v_fma_f64 v[64:65], v[150:151], s[20:21], -v[118:119]
	v_mul_f64 v[122:123], v[188:189], s[30:31]
	v_add_f64 v[2:3], v[64:65], v[2:3]
	v_mul_f64 v[130:131], v[186:187], s[30:31]
	v_fma_f64 v[64:65], s[4:5], v[146:147], v[122:123]
	v_add_f64 v[64:65], v[64:65], v[60:61]
	v_fma_f64 v[60:61], v[150:151], s[4:5], -v[130:131]
	v_mul_f64 v[132:133], v[188:189], s[26:27]
	v_mul_f64 v[86:87], v[74:75], s[26:27]
	v_add_f64 v[66:67], v[60:61], v[62:63]
	v_mul_f64 v[138:139], v[186:187], s[26:27]
	v_fma_f64 v[60:61], s[16:17], v[146:147], v[132:133]
	v_add_f64 v[60:61], v[60:61], v[68:69]
	v_fma_f64 v[62:63], v[150:151], s[16:17], -v[138:139]
	v_fma_f64 v[68:69], s[16:17], v[94:95], v[86:87]
	v_mul_f64 v[140:141], v[168:169], s[34:35]
	v_add_f64 v[62:63], v[62:63], v[70:71]
	v_add_f64 v[68:69], v[4:5], v[68:69]
	v_fma_f64 v[70:71], s[10:11], v[124:125], v[140:141]
	v_mul_f64 v[152:153], v[72:73], s[26:27]
	v_add_f64 v[68:69], v[70:71], v[68:69]
	v_fma_f64 v[70:71], v[96:97], s[16:17], -v[152:153]
	v_mul_f64 v[156:157], v[170:171], s[34:35]
	v_add_f64 v[70:71], v[6:7], v[70:71]
	v_fma_f64 v[148:149], v[126:127], s[10:11], -v[156:157]
	v_add_f64 v[70:71], v[148:149], v[70:71]
	v_mul_f64 v[148:149], v[178:179], s[24:25]
	v_fma_f64 v[154:155], s[4:5], v[134:135], v[148:149]
	v_mul_f64 v[160:161], v[172:173], s[24:25]
	v_add_f64 v[68:69], v[154:155], v[68:69]
	v_fma_f64 v[154:155], v[136:137], s[4:5], -v[160:161]
	v_add_f64 v[70:71], v[154:155], v[70:71]
	v_mul_f64 v[154:155], v[184:185], s[28:29]
	v_fma_f64 v[158:159], s[20:21], v[142:143], v[154:155]
	;; [unrolled: 6-line block ×3, first 2 shown]
	v_add_f64 v[68:69], v[164:165], v[68:69]
	v_mul_f64 v[164:165], v[186:187], s[18:19]
	v_fma_f64 v[166:167], v[150:151], s[8:9], -v[164:165]
	v_add_f64 v[70:71], v[166:167], v[70:71]
	v_mul_f64 v[166:167], v[74:75], s[28:29]
	v_fma_f64 v[74:75], s[20:21], v[94:95], v[166:167]
	v_mul_f64 v[168:169], v[168:169], s[30:31]
	v_add_f64 v[74:75], v[4:5], v[74:75]
	v_fma_f64 v[174:175], s[4:5], v[124:125], v[168:169]
	v_add_f64 v[74:75], v[174:175], v[74:75]
	v_mul_f64 v[174:175], v[72:73], s[28:29]
	v_fma_f64 v[72:73], v[96:97], s[20:21], -v[174:175]
	v_mul_f64 v[176:177], v[170:171], s[30:31]
	v_add_f64 v[72:73], v[6:7], v[72:73]
	v_fma_f64 v[170:171], v[126:127], s[4:5], -v[176:177]
	v_mul_f64 v[180:181], v[172:173], s[26:27]
	v_add_f64 v[72:73], v[170:171], v[72:73]
	v_mul_f64 v[170:171], v[178:179], s[26:27]
	v_fma_f64 v[172:173], v[136:137], s[16:17], -v[180:181]
	v_fma_f64 v[178:179], s[16:17], v[134:135], v[170:171]
	v_add_f64 v[72:73], v[172:173], v[72:73]
	v_mul_f64 v[172:173], v[184:185], s[18:19]
	v_add_f64 v[74:75], v[178:179], v[74:75]
	v_fma_f64 v[178:179], s[8:9], v[142:143], v[172:173]
	v_mul_f64 v[182:183], v[182:183], s[18:19]
	v_add_f64 v[74:75], v[178:179], v[74:75]
	v_fma_f64 v[178:179], v[144:145], s[8:9], -v[182:183]
	v_add_f64 v[190:191], v[178:179], v[72:73]
	v_mul_f64 v[178:179], v[188:189], s[22:23]
	v_mul_f64 v[184:185], v[186:187], s[22:23]
	v_fma_f64 v[72:73], s[10:11], v[146:147], v[178:179]
	v_add_f64 v[72:73], v[72:73], v[74:75]
	v_fma_f64 v[74:75], v[150:151], s[10:11], -v[184:185]
	v_mul_lo_u16_e32 v116, 11, v239
	v_add_f64 v[74:75], v[74:75], v[190:191]
	v_accvgpr_write_b32 a2, v116
	s_barrier
	s_and_saveexec_b64 s[18:19], s[0:1]
	s_cbranch_execz .LBB0_7
; %bb.6:
	v_mul_f64 v[186:187], v[94:95], s[4:5]
	v_mul_f64 v[188:189], v[96:97], s[4:5]
	;; [unrolled: 1-line block ×20, first 2 shown]
	v_add_f64 v[96:97], v[174:175], v[96:97]
	v_add_f64 v[94:95], v[94:95], -v[166:167]
	v_mul_f64 v[218:219], v[134:135], s[10:11]
	v_mul_f64 v[220:221], v[136:137], s[10:11]
	;; [unrolled: 1-line block ×10, first 2 shown]
	v_add_f64 v[126:127], v[176:177], v[126:127]
	v_add_f64 v[96:97], v[6:7], v[96:97]
	v_add_f64 v[124:125], v[124:125], -v[168:169]
	v_add_f64 v[94:95], v[4:5], v[94:95]
	v_mul_f64 v[234:235], v[142:143], s[16:17]
	v_mul_f64 v[236:237], v[144:145], s[16:17]
	;; [unrolled: 1-line block ×11, first 2 shown]
	v_add_f64 v[136:137], v[180:181], v[136:137]
	v_add_f64 v[96:97], v[126:127], v[96:97]
	v_add_f64 v[134:135], v[134:135], -v[170:171]
	v_add_f64 v[94:95], v[124:125], v[94:95]
	v_add_f64 v[184:185], v[184:185], v[252:253]
	v_mul_f64 v[252:253], v[146:147], s[20:21]
	v_add_f64 v[144:145], v[182:183], v[144:145]
	v_mul_f64 v[180:181], v[146:147], s[4:5]
	v_mul_f64 v[174:175], v[146:147], s[16:17]
	v_add_f64 v[96:97], v[136:137], v[96:97]
	v_mul_f64 v[136:137], v[146:147], s[8:9]
	v_mul_f64 v[146:147], v[146:147], s[10:11]
	v_add_f64 v[142:143], v[142:143], -v[172:173]
	v_add_f64 v[94:95], v[134:135], v[94:95]
	v_add_f64 v[96:97], v[144:145], v[96:97]
	v_add_f64 v[144:145], v[146:147], -v[178:179]
	v_add_f64 v[94:95], v[142:143], v[94:95]
	v_add_f64 v[94:95], v[144:145], v[94:95]
	;; [unrolled: 1-line block ×5, first 2 shown]
	v_mul_f64 v[126:127], v[150:151], s[8:9]
	v_add_f64 v[134:135], v[160:161], v[232:233]
	v_add_f64 v[142:143], v[142:143], v[144:145]
	;; [unrolled: 1-line block ×5, first 2 shown]
	v_add_f64 v[86:87], v[198:199], -v[86:87]
	v_add_f64 v[126:127], v[126:127], v[134:135]
	v_add_f64 v[140:141], v[214:215], -v[140:141]
	v_add_f64 v[86:87], v[4:5], v[86:87]
	v_add_f64 v[78:79], v[78:79], v[196:197]
	;; [unrolled: 1-line block ×3, first 2 shown]
	v_add_f64 v[124:125], v[136:137], -v[158:159]
	v_add_f64 v[136:137], v[230:231], -v[148:149]
	v_add_f64 v[86:87], v[140:141], v[86:87]
	v_add_f64 v[98:99], v[98:99], v[212:213]
	;; [unrolled: 1-line block ×3, first 2 shown]
	v_add_f64 v[134:135], v[248:249], -v[154:155]
	v_add_f64 v[86:87], v[136:137], v[86:87]
	v_add_f64 v[112:113], v[112:113], v[228:229]
	v_add_f64 v[78:79], v[98:99], v[78:79]
	v_add_f64 v[58:59], v[194:195], -v[58:59]
	v_add_f64 v[54:55], v[54:55], v[192:193]
	v_add_f64 v[52:53], v[190:191], -v[52:53]
	v_add_f64 v[50:51], v[50:51], v[188:189]
	v_add_f64 v[48:49], v[186:187], -v[48:49]
	v_mul_f64 v[254:255], v[150:151], s[16:17]
	v_add_f64 v[86:87], v[134:135], v[86:87]
	v_add_f64 v[128:129], v[128:129], v[246:247]
	;; [unrolled: 1-line block ×3, first 2 shown]
	v_add_f64 v[90:91], v[210:211], -v[90:91]
	v_add_f64 v[58:59], v[4:5], v[58:59]
	v_add_f64 v[54:55], v[6:7], v[54:55]
	;; [unrolled: 1-line block ×10, first 2 shown]
	v_add_f64 v[98:99], v[226:227], -v[106:107]
	v_add_f64 v[58:59], v[90:91], v[58:59]
	v_add_f64 v[6:7], v[6:7], v[14:15]
	;; [unrolled: 1-line block ×4, first 2 shown]
	v_add_f64 v[86:87], v[244:245], -v[120:121]
	v_add_f64 v[58:59], v[98:99], v[58:59]
	v_add_f64 v[82:83], v[82:83], v[208:209]
	;; [unrolled: 1-line block ×4, first 2 shown]
	v_add_f64 v[78:79], v[174:175], -v[132:133]
	v_add_f64 v[58:59], v[86:87], v[58:59]
	v_add_f64 v[86:87], v[102:103], v[224:225]
	;; [unrolled: 1-line block ×3, first 2 shown]
	v_add_f64 v[80:81], v[206:207], -v[80:81]
	v_add_f64 v[6:7], v[6:7], v[22:23]
	v_add_f64 v[4:5], v[4:5], v[20:21]
	;; [unrolled: 1-line block ×5, first 2 shown]
	v_add_f64 v[82:83], v[222:223], -v[92:93]
	v_add_f64 v[52:53], v[80:81], v[52:53]
	v_add_f64 v[76:77], v[76:77], v[204:205]
	;; [unrolled: 1-line block ×4, first 2 shown]
	v_mul_f64 v[176:177], v[150:151], s[4:5]
	v_add_f64 v[54:55], v[78:79], v[54:55]
	v_add_f64 v[78:79], v[240:241], -v[108:109]
	v_add_f64 v[52:53], v[82:83], v[52:53]
	v_add_f64 v[80:81], v[88:89], v[220:221]
	;; [unrolled: 1-line block ×9, first 2 shown]
	v_add_f64 v[56:57], v[202:203], -v[56:57]
	v_add_f64 v[6:7], v[6:7], v[34:35]
	v_add_f64 v[4:5], v[4:5], v[32:33]
	v_mul_f64 v[182:183], v[150:151], s[20:21]
	v_add_f64 v[54:55], v[58:59], v[54:55]
	v_add_f64 v[58:59], v[180:181], -v[122:123]
	v_add_f64 v[50:51], v[78:79], v[50:51]
	v_add_f64 v[78:79], v[218:219], -v[84:85]
	v_add_f64 v[48:49], v[56:57], v[48:49]
	v_add_f64 v[6:7], v[6:7], v[38:39]
	;; [unrolled: 1-line block ×5, first 2 shown]
	v_add_f64 v[76:77], v[234:235], -v[100:101]
	v_add_f64 v[48:49], v[78:79], v[48:49]
	v_add_f64 v[6:7], v[6:7], v[42:43]
	;; [unrolled: 1-line block ×3, first 2 shown]
	v_accvgpr_read_b32 v8, a2
	v_add_f64 v[50:51], v[58:59], v[50:51]
	v_add_f64 v[58:59], v[252:253], -v[110:111]
	v_add_f64 v[48:49], v[76:77], v[48:49]
	v_add_f64 v[6:7], v[6:7], v[46:47]
	;; [unrolled: 1-line block ×3, first 2 shown]
	v_lshlrev_b32_e32 v8, 4, v8
	v_add_f64 v[96:97], v[184:185], v[96:97]
	v_add_f64 v[48:49], v[58:59], v[48:49]
	ds_write_b128 v8, v[4:7]
	ds_write_b128 v8, v[48:51] offset:16
	ds_write_b128 v8, v[52:55] offset:32
	;; [unrolled: 1-line block ×10, first 2 shown]
.LBB0_7:
	s_or_b64 exec, exec, s[18:19]
	s_load_dwordx4 s[8:11], s[2:3], 0x0
	s_movk_i32 s2, 0x75
	v_mul_lo_u16_sdwa v4, v239, s2 dst_sel:DWORD dst_unused:UNUSED_PAD src0_sel:BYTE_0 src1_sel:DWORD
	v_sub_u16_sdwa v5, v239, v4 dst_sel:DWORD dst_unused:UNUSED_PAD src0_sel:DWORD src1_sel:BYTE_1
	v_lshrrev_b16_e32 v5, 1, v5
	v_and_b32_e32 v5, 0x7f, v5
	v_add_u16_sdwa v4, v5, v4 dst_sel:DWORD dst_unused:UNUSED_PAD src0_sel:DWORD src1_sel:BYTE_1
	v_lshrrev_b16_e32 v100, 3, v4
	v_mul_lo_u16_e32 v4, 11, v100
	v_sub_u16_e32 v4, v239, v4
	v_and_b32_e32 v101, 0xff, v4
	s_movk_i32 s2, 0x50
	v_pk_mov_b32 v[4:5], s[14:15], s[14:15] op_sel:[0,1]
	v_mad_u64_u32 v[24:25], s[2:3], v101, s2, v[4:5]
	s_waitcnt lgkmcnt(0)
	s_barrier
	global_load_dwordx4 v[16:19], v[24:25], off
	global_load_dwordx4 v[12:15], v[24:25], off offset:16
	global_load_dwordx4 v[8:11], v[24:25], off offset:32
	;; [unrolled: 1-line block ×4, first 2 shown]
	ds_read_b128 v[24:27], v117
	ds_read_b128 v[28:31], v117 offset:1760
	ds_read_b128 v[32:35], v117 offset:3520
	;; [unrolled: 1-line block ×5, first 2 shown]
	s_mov_b32 s2, 0xe8584caa
	s_mov_b32 s3, 0x3febb67a
	;; [unrolled: 1-line block ×4, first 2 shown]
	s_waitcnt lgkmcnt(0)
	s_barrier
	s_waitcnt vmcnt(4)
	v_mul_f64 v[50:51], v[28:29], v[18:19]
	s_waitcnt vmcnt(3)
	v_mul_f64 v[52:53], v[34:35], v[14:15]
	v_mul_f64 v[54:55], v[32:33], v[14:15]
	s_waitcnt vmcnt(2)
	v_mul_f64 v[56:57], v[38:39], v[10:11]
	s_waitcnt vmcnt(1)
	v_mul_f64 v[76:77], v[42:43], v[6:7]
	v_mul_f64 v[78:79], v[40:41], v[6:7]
	s_waitcnt vmcnt(0)
	v_mul_f64 v[80:81], v[46:47], v[22:23]
	v_mul_f64 v[48:49], v[30:31], v[18:19]
	;; [unrolled: 1-line block ×4, first 2 shown]
	v_fmac_f64_e32 v[50:51], v[30:31], v[16:17]
	v_fma_f64 v[30:31], v[32:33], v[12:13], -v[52:53]
	v_fmac_f64_e32 v[54:55], v[34:35], v[12:13]
	v_fma_f64 v[32:33], v[36:37], v[8:9], -v[56:57]
	v_fma_f64 v[34:35], v[40:41], v[4:5], -v[76:77]
	v_fmac_f64_e32 v[78:79], v[42:43], v[4:5]
	v_fma_f64 v[36:37], v[44:45], v[20:21], -v[80:81]
	v_fma_f64 v[28:29], v[28:29], v[16:17], -v[48:49]
	v_fmac_f64_e32 v[58:59], v[38:39], v[8:9]
	v_fmac_f64_e32 v[82:83], v[46:47], v[20:21]
	v_add_f64 v[40:41], v[30:31], v[34:35]
	v_add_f64 v[46:47], v[54:55], v[78:79]
	;; [unrolled: 1-line block ×4, first 2 shown]
	v_add_f64 v[42:43], v[54:55], -v[78:79]
	v_add_f64 v[44:45], v[26:27], v[54:55]
	v_add_f64 v[30:31], v[30:31], -v[34:35]
	v_add_f64 v[48:49], v[28:29], v[32:33]
	;; [unrolled: 2-line block ×3, first 2 shown]
	v_add_f64 v[58:59], v[58:59], v[82:83]
	v_fmac_f64_e32 v[24:25], -0.5, v[40:41]
	v_fmac_f64_e32 v[26:27], -0.5, v[46:47]
	v_fmac_f64_e32 v[28:29], -0.5, v[52:53]
	v_add_f64 v[32:33], v[32:33], -v[36:37]
	v_add_f64 v[34:35], v[38:39], v[34:35]
	v_add_f64 v[38:39], v[44:45], v[78:79]
	;; [unrolled: 1-line block ×3, first 2 shown]
	v_fmac_f64_e32 v[50:51], -0.5, v[58:59]
	v_fma_f64 v[44:45], s[2:3], v[42:43], v[24:25]
	v_fmac_f64_e32 v[24:25], s[4:5], v[42:43]
	v_fma_f64 v[42:43], s[4:5], v[30:31], v[26:27]
	v_fmac_f64_e32 v[26:27], s[2:3], v[30:31]
	;; [unrolled: 2-line block ×3, first 2 shown]
	v_add_f64 v[40:41], v[56:57], v[82:83]
	v_fma_f64 v[46:47], s[4:5], v[32:33], v[50:51]
	v_fmac_f64_e32 v[50:51], s[2:3], v[32:33]
	v_add_f64 v[92:93], v[34:35], v[36:37]
	v_add_f64 v[76:77], v[34:35], -v[36:37]
	v_mul_f64 v[34:35], v[28:29], -0.5
	v_add_f64 v[94:95], v[38:39], v[40:41]
	v_add_f64 v[78:79], v[38:39], -v[40:41]
	v_mul_f64 v[32:33], v[46:47], s[2:3]
	v_mul_f64 v[36:37], v[30:31], s[4:5]
	v_mul_f64 v[38:39], v[50:51], -0.5
	v_fmac_f64_e32 v[34:35], s[2:3], v[50:51]
	v_fmac_f64_e32 v[32:33], 0.5, v[30:31]
	v_fmac_f64_e32 v[36:37], 0.5, v[46:47]
	v_fmac_f64_e32 v[38:39], s[4:5], v[28:29]
	v_add_f64 v[84:85], v[24:25], v[34:35]
	v_add_f64 v[96:97], v[24:25], -v[34:35]
	s_movk_i32 s2, 0x42
	v_mul_u32_u24_e32 v24, 0x42, v100
	v_add_f64 v[80:81], v[44:45], v[32:33]
	v_add_f64 v[82:83], v[42:43], v[36:37]
	;; [unrolled: 1-line block ×3, first 2 shown]
	v_add_f64 v[88:89], v[44:45], -v[32:33]
	v_add_f64 v[90:91], v[42:43], -v[36:37]
	;; [unrolled: 1-line block ×3, first 2 shown]
	v_add_lshl_u32 v116, v24, v101, 4
	v_cmp_gt_u16_e64 s[2:3], s2, v239
	ds_write_b128 v116, v[92:95]
	ds_write_b128 v116, v[80:83] offset:176
	ds_write_b128 v116, v[84:87] offset:352
	;; [unrolled: 1-line block ×5, first 2 shown]
	s_waitcnt lgkmcnt(0)
	s_barrier
	s_and_saveexec_b64 s[4:5], s[2:3]
	s_cbranch_execz .LBB0_9
; %bb.8:
	ds_read_b128 v[92:95], v117
	ds_read_b128 v[80:83], v117 offset:1056
	ds_read_b128 v[84:87], v117 offset:2112
	;; [unrolled: 1-line block ×9, first 2 shown]
.LBB0_9:
	s_or_b64 exec, exec, s[4:5]
	v_add_u32_e32 v24, 0xffffffbe, v239
	v_cndmask_b32_e64 v24, v24, v239, s[2:3]
	v_mul_hi_i32_i24_e32 v25, 0x90, v24
	v_mul_i32_i24_e32 v24, 0x90, v24
	v_mov_b32_e32 v26, s15
	v_add_co_u32_e32 v100, vcc, s14, v24
	v_addc_co_u32_e32 v101, vcc, v26, v25, vcc
	global_load_dwordx4 v[246:249], v[100:101], off offset:880
	global_load_dwordx4 v[42:45], v[100:101], off offset:896
	;; [unrolled: 1-line block ×9, first 2 shown]
	s_mov_b32 s4, 0x134454ff
	s_mov_b32 s5, 0x3fee6f0e
	;; [unrolled: 1-line block ×12, first 2 shown]
	s_waitcnt vmcnt(8) lgkmcnt(8)
	v_mul_f64 v[102:103], v[80:81], v[248:249]
	s_waitcnt vmcnt(7) lgkmcnt(7)
	v_mul_f64 v[104:105], v[86:87], v[44:45]
	v_mul_f64 v[100:101], v[82:83], v[248:249]
	s_waitcnt vmcnt(6) lgkmcnt(6)
	v_mul_f64 v[110:111], v[76:77], v[56:57]
	s_waitcnt vmcnt(5) lgkmcnt(5)
	v_mul_f64 v[112:113], v[90:91], v[40:41]
	v_fmac_f64_e32 v[102:103], v[82:83], v[246:247]
	v_fma_f64 v[82:83], v[84:85], v[42:43], -v[104:105]
	s_waitcnt vmcnt(1) lgkmcnt(1)
	v_mul_f64 v[132:133], v[60:61], v[52:53]
	s_waitcnt vmcnt(0) lgkmcnt(0)
	v_mul_f64 v[134:135], v[66:67], v[30:31]
	v_mul_f64 v[108:109], v[78:79], v[56:57]
	;; [unrolled: 1-line block ×5, first 2 shown]
	v_fmac_f64_e32 v[110:111], v[78:79], v[54:55]
	v_fma_f64 v[78:79], v[88:89], v[38:39], -v[112:113]
	v_fmac_f64_e32 v[132:133], v[62:63], v[50:51]
	v_fma_f64 v[62:63], v[64:65], v[28:29], -v[134:135]
	v_add_f64 v[64:65], v[92:93], v[82:83]
	v_mul_f64 v[106:107], v[84:85], v[44:45]
	v_mul_f64 v[114:115], v[88:89], v[40:41]
	;; [unrolled: 1-line block ×5, first 2 shown]
	v_fma_f64 v[72:73], v[72:73], v[46:47], -v[122:123]
	v_fma_f64 v[60:61], v[60:61], v[50:51], -v[130:131]
	v_add_f64 v[64:65], v[64:65], v[78:79]
	v_fmac_f64_e32 v[106:107], v[86:87], v[42:43]
	v_fmac_f64_e32 v[114:115], v[90:91], v[38:39]
	v_fma_f64 v[84:85], v[96:97], v[24:25], -v[118:119]
	v_fmac_f64_e32 v[120:121], v[98:99], v[24:25]
	v_fmac_f64_e32 v[124:125], v[74:75], v[46:47]
	;; [unrolled: 1-line block ×3, first 2 shown]
	v_add_f64 v[66:67], v[78:79], v[72:73]
	v_add_f64 v[86:87], v[82:83], -v[78:79]
	v_add_f64 v[88:89], v[60:61], -v[72:73]
	v_add_f64 v[90:91], v[82:83], v[60:61]
	v_add_f64 v[96:97], v[78:79], -v[82:83]
	v_add_f64 v[98:99], v[72:73], -v[60:61]
	v_add_f64 v[64:65], v[64:65], v[72:73]
	v_mul_f64 v[128:129], v[68:69], v[252:253]
	v_fma_f64 v[80:81], v[80:81], v[246:247], -v[100:101]
	v_add_f64 v[74:75], v[114:115], -v[124:125]
	v_fma_f64 v[100:101], -0.5, v[66:67], v[92:93]
	v_add_f64 v[66:67], v[86:87], v[88:89]
	v_fmac_f64_e32 v[92:93], -0.5, v[90:91]
	v_add_f64 v[86:87], v[96:97], v[98:99]
	v_add_f64 v[96:97], v[64:65], v[60:61]
	;; [unrolled: 1-line block ×3, first 2 shown]
	v_mul_f64 v[126:127], v[70:71], v[252:253]
	v_fmac_f64_e32 v[128:129], v[70:71], v[250:251]
	v_add_f64 v[70:71], v[106:107], -v[132:133]
	v_fma_f64 v[90:91], s[18:19], v[74:75], v[92:93]
	v_fmac_f64_e32 v[92:93], s[4:5], v[74:75]
	v_add_f64 v[64:65], v[64:65], v[114:115]
	v_fmac_f64_e32 v[90:91], s[16:17], v[70:71]
	v_fmac_f64_e32 v[92:93], s[20:21], v[70:71]
	v_add_f64 v[64:65], v[64:65], v[124:125]
	v_fma_f64 v[88:89], s[4:5], v[70:71], v[100:101]
	v_fmac_f64_e32 v[100:101], s[18:19], v[70:71]
	v_fmac_f64_e32 v[90:91], s[14:15], v[86:87]
	;; [unrolled: 1-line block ×3, first 2 shown]
	v_add_f64 v[86:87], v[64:65], v[132:133]
	v_add_f64 v[64:65], v[114:115], v[124:125]
	v_fmac_f64_e32 v[88:89], s[16:17], v[74:75]
	v_fmac_f64_e32 v[100:101], s[20:21], v[74:75]
	v_fma_f64 v[98:99], -0.5, v[64:65], v[94:95]
	v_add_f64 v[60:61], v[82:83], -v[60:61]
	v_fmac_f64_e32 v[88:89], s[14:15], v[66:67]
	v_fmac_f64_e32 v[100:101], s[14:15], v[66:67]
	v_fma_f64 v[104:105], s[18:19], v[60:61], v[98:99]
	v_add_f64 v[64:65], v[78:79], -v[72:73]
	v_add_f64 v[66:67], v[106:107], -v[114:115]
	;; [unrolled: 1-line block ×3, first 2 shown]
	v_fmac_f64_e32 v[98:99], s[4:5], v[60:61]
	v_fmac_f64_e32 v[104:105], s[20:21], v[64:65]
	v_add_f64 v[66:67], v[66:67], v[70:71]
	v_fmac_f64_e32 v[98:99], s[16:17], v[64:65]
	v_fmac_f64_e32 v[104:105], s[14:15], v[66:67]
	;; [unrolled: 1-line block ×3, first 2 shown]
	v_add_f64 v[66:67], v[106:107], v[132:133]
	v_fmac_f64_e32 v[94:95], -0.5, v[66:67]
	v_fma_f64 v[76:77], v[76:77], v[54:55], -v[108:109]
	v_fma_f64 v[108:109], s[4:5], v[64:65], v[94:95]
	v_fmac_f64_e32 v[94:95], s[18:19], v[64:65]
	v_fmac_f64_e32 v[108:109], s[20:21], v[60:61]
	;; [unrolled: 1-line block ×3, first 2 shown]
	v_add_f64 v[60:61], v[80:81], v[76:77]
	v_fma_f64 v[68:69], v[68:69], v[250:251], -v[126:127]
	v_add_f64 v[60:61], v[60:61], v[84:85]
	v_add_f64 v[60:61], v[60:61], v[68:69]
	v_add_f64 v[66:67], v[114:115], -v[106:107]
	v_add_f64 v[70:71], v[124:125], -v[132:133]
	v_add_f64 v[82:83], v[60:61], v[62:63]
	v_add_f64 v[60:61], v[84:85], v[68:69]
	;; [unrolled: 1-line block ×3, first 2 shown]
	v_fma_f64 v[78:79], -0.5, v[60:61], v[80:81]
	v_add_f64 v[60:61], v[110:111], -v[136:137]
	v_fmac_f64_e32 v[108:109], s[14:15], v[66:67]
	v_fmac_f64_e32 v[94:95], s[14:15], v[66:67]
	v_fma_f64 v[66:67], s[4:5], v[60:61], v[78:79]
	v_add_f64 v[64:65], v[120:121], -v[128:129]
	v_add_f64 v[70:71], v[76:77], -v[84:85]
	v_add_f64 v[72:73], v[62:63], -v[68:69]
	v_fmac_f64_e32 v[78:79], s[18:19], v[60:61]
	v_fmac_f64_e32 v[66:67], s[16:17], v[64:65]
	v_add_f64 v[70:71], v[70:71], v[72:73]
	v_fmac_f64_e32 v[78:79], s[20:21], v[64:65]
	v_fmac_f64_e32 v[66:67], s[14:15], v[70:71]
	;; [unrolled: 1-line block ×3, first 2 shown]
	v_add_f64 v[70:71], v[76:77], v[62:63]
	v_fmac_f64_e32 v[80:81], -0.5, v[70:71]
	v_fma_f64 v[70:71], s[18:19], v[64:65], v[80:81]
	v_fmac_f64_e32 v[80:81], s[4:5], v[64:65]
	v_fmac_f64_e32 v[70:71], s[16:17], v[60:61]
	;; [unrolled: 1-line block ×3, first 2 shown]
	v_add_f64 v[60:61], v[102:103], v[110:111]
	v_add_f64 v[60:61], v[60:61], v[120:121]
	;; [unrolled: 1-line block ×5, first 2 shown]
	v_add_f64 v[72:73], v[84:85], -v[76:77]
	v_add_f64 v[74:75], v[68:69], -v[62:63]
	v_fma_f64 v[112:113], -0.5, v[60:61], v[102:103]
	v_add_f64 v[60:61], v[76:77], -v[62:63]
	v_add_f64 v[72:73], v[72:73], v[74:75]
	v_fma_f64 v[74:75], s[18:19], v[60:61], v[112:113]
	v_add_f64 v[62:63], v[84:85], -v[68:69]
	v_add_f64 v[64:65], v[110:111], -v[120:121]
	;; [unrolled: 1-line block ×3, first 2 shown]
	v_fmac_f64_e32 v[112:113], s[4:5], v[60:61]
	v_fmac_f64_e32 v[74:75], s[20:21], v[62:63]
	v_add_f64 v[64:65], v[64:65], v[68:69]
	v_fmac_f64_e32 v[112:113], s[16:17], v[62:63]
	v_fmac_f64_e32 v[74:75], s[14:15], v[64:65]
	;; [unrolled: 1-line block ×3, first 2 shown]
	v_add_f64 v[64:65], v[110:111], v[136:137]
	v_fmac_f64_e32 v[102:103], -0.5, v[64:65]
	v_fma_f64 v[84:85], s[4:5], v[62:63], v[102:103]
	v_add_f64 v[64:65], v[120:121], -v[110:111]
	v_add_f64 v[68:69], v[128:129], -v[136:137]
	v_fmac_f64_e32 v[102:103], s[18:19], v[62:63]
	v_add_f64 v[64:65], v[64:65], v[68:69]
	v_fmac_f64_e32 v[102:103], s[16:17], v[60:61]
	v_fmac_f64_e32 v[80:81], s[14:15], v[72:73]
	;; [unrolled: 1-line block ×4, first 2 shown]
	v_mul_f64 v[122:123], v[66:67], s[20:21]
	v_fmac_f64_e32 v[70:71], s[14:15], v[72:73]
	v_fmac_f64_e32 v[84:85], s[14:15], v[64:65]
	v_mul_f64 v[110:111], v[74:75], s[16:17]
	v_mul_f64 v[62:63], v[80:81], s[14:15]
	v_fmac_f64_e32 v[122:123], s[22:23], v[74:75]
	v_mul_f64 v[74:75], v[102:103], s[14:15]
	v_mul_f64 v[114:115], v[84:85], s[4:5]
	v_fma_f64 v[118:119], v[102:103], s[4:5], -v[62:63]
	v_mul_f64 v[62:63], v[78:79], s[22:23]
	v_mul_f64 v[124:125], v[70:71], s[18:19]
	v_fma_f64 v[102:103], v[80:81], s[18:19], -v[74:75]
	v_mul_f64 v[80:81], v[112:113], s[22:23]
	v_accvgpr_write_b32 a20, v24
	v_accvgpr_write_b32 a35, v31
	v_fmac_f64_e32 v[110:111], s[22:23], v[66:67]
	v_fmac_f64_e32 v[114:115], s[14:15], v[70:71]
	v_fma_f64 v[120:121], v[112:113], s[16:17], -v[62:63]
	v_fmac_f64_e32 v[124:125], s[14:15], v[84:85]
	v_fma_f64 v[112:113], v[78:79], s[20:21], -v[80:81]
	v_accvgpr_write_b32 a21, v25
	v_accvgpr_write_b32 a22, v26
	;; [unrolled: 1-line block ×6, first 2 shown]
	v_add_f64 v[60:61], v[96:97], v[82:83]
	v_add_f64 v[64:65], v[88:89], v[110:111]
	;; [unrolled: 1-line block ×10, first 2 shown]
	v_add_f64 v[80:81], v[96:97], -v[82:83]
	v_add_f64 v[84:85], v[88:89], -v[110:111]
	;; [unrolled: 1-line block ×10, first 2 shown]
	s_and_saveexec_b64 s[4:5], s[2:3]
	s_cbranch_execz .LBB0_11
; %bb.10:
	ds_write_b128 v117, v[60:63]
	ds_write_b128 v117, v[64:67] offset:1056
	ds_write_b128 v117, v[68:71] offset:2112
	;; [unrolled: 1-line block ×9, first 2 shown]
.LBB0_11:
	s_or_b64 exec, exec, s[4:5]
	s_waitcnt lgkmcnt(0)
	s_barrier
	s_and_saveexec_b64 s[14:15], s[0:1]
	s_cbranch_execz .LBB0_13
; %bb.12:
	v_mov_b32_e32 v24, s13
	v_add_co_u32_e32 v25, vcc, s12, v117
	s_movk_i32 s4, 0x3000
	v_addc_co_u32_e32 v24, vcc, 0, v24, vcc
	v_add_co_u32_e64 v134, s[4:5], s4, v25
	v_add_co_u32_e32 v114, vcc, 0x2940, v25
	v_addc_co_u32_e64 v135, s[4:5], 0, v24, s[4:5]
	v_addc_co_u32_e32 v115, vcc, 0, v24, vcc
	s_movk_i32 s4, 0x4000
	global_load_dwordx4 v[100:103], v[114:115], off offset:960
	global_load_dwordx4 v[104:107], v[114:115], off offset:1920
	;; [unrolled: 1-line block ×4, first 2 shown]
	v_add_co_u32_e64 v142, s[4:5], s4, v25
	v_add_co_u32_e32 v112, vcc, 0x2000, v25
	v_addc_co_u32_e64 v143, s[4:5], 0, v24, s[4:5]
	global_load_dwordx4 v[122:125], v[134:135], off offset:4032
	global_load_dwordx4 v[126:129], v[142:143], off offset:896
	v_addc_co_u32_e32 v113, vcc, 0, v24, vcc
	global_load_dwordx4 v[130:133], v[142:143], off offset:1856
	s_nop 0
	global_load_dwordx4 v[112:115], v[112:113], off offset:2368
	s_nop 0
	;; [unrolled: 2-line block ×4, first 2 shown]
	global_load_dwordx4 v[142:145], v[142:143], off offset:3776
	ds_read_b128 v[146:149], v117
	ds_read_b128 v[150:153], v117 offset:960
	ds_read_b128 v[154:157], v117 offset:1920
	;; [unrolled: 1-line block ×9, first 2 shown]
	s_waitcnt vmcnt(10) lgkmcnt(8)
	v_mul_f64 v[186:187], v[152:153], v[102:103]
	v_mul_f64 v[188:189], v[150:151], v[102:103]
	s_waitcnt vmcnt(9) lgkmcnt(7)
	v_mul_f64 v[102:103], v[154:155], v[106:107]
	v_mul_f64 v[190:191], v[156:157], v[106:107]
	;; [unrolled: 3-line block ×4, first 2 shown]
	v_fma_f64 v[186:187], v[150:151], v[100:101], -v[186:187]
	s_waitcnt vmcnt(6) lgkmcnt(3)
	v_mul_f64 v[196:197], v[172:173], v[124:125]
	v_mul_f64 v[120:121], v[170:171], v[124:125]
	v_fmac_f64_e32 v[188:189], v[152:153], v[100:101]
	v_fmac_f64_e32 v[102:103], v[156:157], v[104:105]
	s_waitcnt vmcnt(5) lgkmcnt(2)
	v_mul_f64 v[198:199], v[176:177], v[128:129]
	v_mul_f64 v[124:125], v[174:175], v[128:129]
	s_waitcnt vmcnt(4) lgkmcnt(1)
	v_mul_f64 v[200:201], v[180:181], v[132:133]
	s_waitcnt vmcnt(3)
	v_mul_f64 v[202:203], v[148:149], v[114:115]
	v_mul_f64 v[128:129], v[146:147], v[114:115]
	v_fma_f64 v[100:101], v[154:155], v[104:105], -v[190:191]
	v_fma_f64 v[104:105], v[158:159], v[108:109], -v[192:193]
	v_fmac_f64_e32 v[106:107], v[160:161], v[108:109]
	v_fma_f64 v[108:109], v[162:163], v[118:119], -v[194:195]
	v_fmac_f64_e32 v[110:111], v[164:165], v[118:119]
	s_waitcnt vmcnt(2)
	v_mul_f64 v[150:151], v[168:169], v[136:137]
	v_mul_f64 v[114:115], v[166:167], v[136:137]
	v_fma_f64 v[118:119], v[170:171], v[122:123], -v[196:197]
	v_fmac_f64_e32 v[120:121], v[172:173], v[122:123]
	ds_write_b128 v117, v[186:189] offset:960
	ds_write_b128 v117, v[100:103] offset:1920
	;; [unrolled: 1-line block ×4, first 2 shown]
	v_mul_f64 v[102:103], v[178:179], v[132:133]
	v_fma_f64 v[122:123], v[174:175], v[126:127], -v[198:199]
	v_fmac_f64_e32 v[124:125], v[176:177], v[126:127]
	v_fma_f64 v[126:127], v[146:147], v[112:113], -v[202:203]
	v_fmac_f64_e32 v[128:129], v[148:149], v[112:113]
	;; [unrolled: 2-line block ×3, first 2 shown]
	ds_write_b128 v117, v[118:121] offset:5760
	ds_write_b128 v117, v[122:125] offset:6720
	ds_write_b128 v117, v[126:129]
	ds_write_b128 v117, v[112:115] offset:4800
	v_fma_f64 v[100:101], v[178:179], v[130:131], -v[200:201]
	v_fmac_f64_e32 v[102:103], v[180:181], v[130:131]
	ds_write_b128 v117, v[100:103] offset:7680
	ds_read_b128 v[100:103], v117 offset:9600
	s_waitcnt vmcnt(1) lgkmcnt(10)
	v_mul_f64 v[104:105], v[184:185], v[140:141]
	v_mul_f64 v[106:107], v[182:183], v[140:141]
	v_fma_f64 v[104:105], v[182:183], v[138:139], -v[104:105]
	v_fmac_f64_e32 v[106:107], v[184:185], v[138:139]
	ds_write_b128 v117, v[104:107] offset:8640
	s_waitcnt vmcnt(0) lgkmcnt(1)
	v_mul_f64 v[104:105], v[102:103], v[144:145]
	v_mul_f64 v[106:107], v[100:101], v[144:145]
	v_fma_f64 v[104:105], v[100:101], v[142:143], -v[104:105]
	v_fmac_f64_e32 v[106:107], v[102:103], v[142:143]
	ds_write_b128 v117, v[104:107] offset:9600
.LBB0_13:
	s_or_b64 exec, exec, s[14:15]
	s_waitcnt lgkmcnt(0)
	s_barrier
	s_and_saveexec_b64 s[4:5], s[0:1]
	s_cbranch_execz .LBB0_15
; %bb.14:
	ds_read_b128 v[60:63], v117
	ds_read_b128 v[64:67], v117 offset:960
	ds_read_b128 v[68:71], v117 offset:1920
	;; [unrolled: 1-line block ×10, first 2 shown]
.LBB0_15:
	s_or_b64 exec, exec, s[4:5]
	s_mov_b32 s16, 0x8eee2c13
	s_waitcnt lgkmcnt(0)
	v_add_f64 v[122:123], v[66:67], -v[2:3]
	s_mov_b32 s4, 0xd9c712b6
	s_mov_b32 s17, 0xbfed1bb4
	;; [unrolled: 1-line block ×3, first 2 shown]
	v_add_f64 v[118:119], v[64:65], v[0:1]
	v_add_f64 v[120:121], v[66:67], v[2:3]
	s_mov_b32 s5, 0x3fda9628
	v_mul_f64 v[26:27], v[122:123], s[16:17]
	s_mov_b32 s20, 0x43842ef
	s_mov_b32 s18, 0x7f775887
	;; [unrolled: 1-line block ×3, first 2 shown]
	v_add_f64 v[134:135], v[70:71], -v[98:99]
	v_add_f64 v[124:125], v[64:65], -v[0:1]
	v_mul_f64 v[24:25], v[120:121], s[4:5]
	v_fma_f64 v[100:101], v[118:119], s[4:5], -v[26:27]
	s_mov_b32 s14, 0x640f44db
	s_mov_b32 s21, 0xbfefac9e
	;; [unrolled: 1-line block ×4, first 2 shown]
	v_add_f64 v[126:127], v[68:69], v[96:97]
	v_add_f64 v[130:131], v[70:71], v[98:99]
	v_mul_f64 v[146:147], v[134:135], s[24:25]
	v_add_f64 v[100:101], v[60:61], v[100:101]
	v_fma_f64 v[102:103], s[16:17], v[124:125], v[24:25]
	s_mov_b32 s15, 0xbfc2375f
	v_mul_f64 v[138:139], v[122:123], s[20:21]
	s_mov_b32 s22, 0x9bcd5057
	s_mov_b32 s27, 0xbfd207e7
	v_add_f64 v[140:141], v[68:69], -v[96:97]
	v_mul_f64 v[148:149], v[130:131], s[18:19]
	v_fma_f64 v[136:137], v[126:127], s[18:19], -v[146:147]
	s_mov_b32 s39, 0x3fd207e7
	s_mov_b32 s38, s26
	v_add_f64 v[102:103], v[62:63], v[102:103]
	v_mul_f64 v[142:143], v[120:121], s[14:15]
	v_fma_f64 v[104:105], v[118:119], s[14:15], -v[138:139]
	s_mov_b32 s23, 0xbfeeb42a
	v_add_f64 v[100:101], v[136:137], v[100:101]
	v_fma_f64 v[136:137], s[24:25], v[140:141], v[148:149]
	v_mul_f64 v[160:161], v[134:135], s[38:39]
	v_add_f64 v[104:105], v[60:61], v[104:105]
	v_fma_f64 v[106:107], s[20:21], v[124:125], v[142:143]
	v_mul_f64 v[154:155], v[122:123], s[24:25]
	v_add_f64 v[102:103], v[136:137], v[102:103]
	v_mul_f64 v[166:167], v[130:131], s[22:23]
	v_fma_f64 v[136:137], v[126:127], s[22:23], -v[160:161]
	s_mov_b32 s41, 0x3fefac9e
	s_mov_b32 s40, s20
	v_add_f64 v[106:107], v[62:63], v[106:107]
	v_mul_f64 v[162:163], v[120:121], s[18:19]
	v_fma_f64 v[108:109], v[118:119], s[18:19], -v[154:155]
	v_add_f64 v[104:105], v[136:137], v[104:105]
	v_fma_f64 v[136:137], s[38:39], v[140:141], v[166:167]
	v_mul_f64 v[180:181], v[134:135], s[40:41]
	s_mov_b32 s36, 0xf8bb580b
	v_add_f64 v[108:109], v[60:61], v[108:109]
	v_fma_f64 v[110:111], s[24:25], v[124:125], v[162:163]
	v_mul_f64 v[176:177], v[122:123], s[26:27]
	v_add_f64 v[106:107], v[136:137], v[106:107]
	v_mul_f64 v[186:187], v[130:131], s[14:15]
	v_fma_f64 v[136:137], v[126:127], s[14:15], -v[180:181]
	s_mov_b32 s28, 0x8764f0ba
	s_mov_b32 s37, 0x3fe14ced
	v_add_f64 v[110:111], v[62:63], v[110:111]
	v_mul_f64 v[184:185], v[120:121], s[22:23]
	v_fma_f64 v[112:113], v[118:119], s[22:23], -v[176:177]
	v_add_f64 v[108:109], v[136:137], v[108:109]
	v_fma_f64 v[136:137], s[40:41], v[140:141], v[186:187]
	s_mov_b32 s29, 0x3feaeb8c
	v_mul_f64 v[198:199], v[134:135], s[36:37]
	v_add_f64 v[112:113], v[60:61], v[112:113]
	v_fma_f64 v[114:115], s[26:27], v[124:125], v[184:185]
	v_add_f64 v[110:111], v[136:137], v[110:111]
	v_mul_f64 v[212:213], v[130:131], s[28:29]
	v_fma_f64 v[136:137], v[126:127], s[28:29], -v[198:199]
	v_add_f64 v[114:115], v[62:63], v[114:115]
	v_add_f64 v[112:113], v[136:137], v[112:113]
	v_fma_f64 v[136:137], s[36:37], v[140:141], v[212:213]
	v_add_f64 v[150:151], v[74:75], -v[94:95]
	v_add_f64 v[114:115], v[136:137], v[114:115]
	v_add_f64 v[136:137], v[72:73], v[92:93]
	;; [unrolled: 1-line block ×3, first 2 shown]
	v_mul_f64 v[164:165], v[150:151], s[38:39]
	v_add_f64 v[156:157], v[72:73], -v[92:93]
	v_mul_f64 v[172:173], v[144:145], s[22:23]
	v_fma_f64 v[152:153], v[136:137], s[22:23], -v[164:165]
	s_mov_b32 s43, 0x3fed1bb4
	s_mov_b32 s42, s16
	v_add_f64 v[100:101], v[152:153], v[100:101]
	v_fma_f64 v[152:153], s[38:39], v[156:157], v[172:173]
	v_mul_f64 v[182:183], v[150:151], s[42:43]
	v_add_f64 v[102:103], v[152:153], v[102:103]
	v_mul_f64 v[192:193], v[144:145], s[4:5]
	v_fma_f64 v[152:153], v[136:137], s[4:5], -v[182:183]
	s_mov_b32 s35, 0xbfe14ced
	s_mov_b32 s34, s36
	v_add_f64 v[104:105], v[152:153], v[104:105]
	v_fma_f64 v[152:153], s[42:43], v[156:157], v[192:193]
	v_mul_f64 v[204:205], v[150:151], s[34:35]
	v_add_f64 v[106:107], v[152:153], v[106:107]
	v_mul_f64 v[210:211], v[144:145], s[28:29]
	v_fma_f64 v[152:153], v[136:137], s[28:29], -v[204:205]
	v_add_f64 v[108:109], v[152:153], v[108:109]
	v_fma_f64 v[152:153], s[34:35], v[156:157], v[210:211]
	v_mul_f64 v[218:219], v[150:151], s[24:25]
	v_add_f64 v[110:111], v[152:153], v[110:111]
	v_mul_f64 v[224:225], v[144:145], s[18:19]
	v_fma_f64 v[152:153], v[136:137], s[18:19], -v[218:219]
	v_add_f64 v[112:113], v[152:153], v[112:113]
	v_fma_f64 v[152:153], s[24:25], v[156:157], v[224:225]
	v_add_f64 v[170:171], v[78:79], -v[90:91]
	v_add_f64 v[114:115], v[152:153], v[114:115]
	v_add_f64 v[152:153], v[76:77], v[88:89]
	;; [unrolled: 1-line block ×3, first 2 shown]
	v_mul_f64 v[190:191], v[170:171], s[40:41]
	v_add_f64 v[178:179], v[76:77], -v[88:89]
	v_mul_f64 v[194:195], v[158:159], s[14:15]
	v_fma_f64 v[168:169], v[152:153], s[14:15], -v[190:191]
	v_add_f64 v[100:101], v[168:169], v[100:101]
	v_fma_f64 v[168:169], s[40:41], v[178:179], v[194:195]
	v_mul_f64 v[202:203], v[170:171], s[34:35]
	v_add_f64 v[102:103], v[168:169], v[102:103]
	v_mul_f64 v[208:209], v[158:159], s[28:29]
	v_fma_f64 v[168:169], v[152:153], s[28:29], -v[202:203]
	v_add_f64 v[226:227], v[168:169], v[104:105]
	v_fma_f64 v[104:105], s[34:35], v[178:179], v[208:209]
	v_mul_f64 v[216:217], v[170:171], s[26:27]
	v_add_f64 v[230:231], v[104:105], v[106:107]
	;; [unrolled: 6-line block ×3, first 2 shown]
	v_mul_f64 v[232:233], v[158:159], s[4:5]
	v_fma_f64 v[104:105], v[152:153], s[4:5], -v[228:229]
	v_add_f64 v[188:189], v[82:83], -v[86:87]
	v_add_f64 v[242:243], v[104:105], v[112:113]
	v_fma_f64 v[104:105], s[42:43], v[178:179], v[232:233]
	v_add_f64 v[168:169], v[80:81], v[84:85]
	v_add_f64 v[174:175], v[82:83], v[86:87]
	v_mul_f64 v[200:201], v[188:189], s[36:37]
	v_add_f64 v[244:245], v[104:105], v[114:115]
	v_add_f64 v[196:197], v[80:81], -v[84:85]
	v_mul_f64 v[206:207], v[174:175], s[28:29]
	v_fma_f64 v[104:105], v[168:169], s[28:29], -v[200:201]
	v_add_f64 v[104:105], v[104:105], v[100:101]
	v_fma_f64 v[100:101], s[36:37], v[196:197], v[206:207]
	v_mul_f64 v[214:215], v[188:189], s[24:25]
	v_add_f64 v[106:107], v[100:101], v[102:103]
	v_mul_f64 v[220:221], v[174:175], s[18:19]
	v_fma_f64 v[100:101], v[168:169], s[18:19], -v[214:215]
	v_add_f64 v[112:113], v[100:101], v[226:227]
	v_fma_f64 v[100:101], s[24:25], v[196:197], v[220:221]
	v_add_f64 v[114:115], v[100:101], v[230:231]
	v_mul_f64 v[226:227], v[188:189], s[42:43]
	v_mul_f64 v[230:231], v[174:175], s[4:5]
	v_fma_f64 v[100:101], v[168:169], s[4:5], -v[226:227]
	v_fma_f64 v[102:103], s[42:43], v[196:197], v[230:231]
	v_mul_f64 v[234:235], v[188:189], s[20:21]
	v_mul_f64 v[236:237], v[174:175], s[14:15]
	v_add_f64 v[100:101], v[100:101], v[108:109]
	v_add_f64 v[102:103], v[102:103], v[110:111]
	v_fma_f64 v[108:109], v[168:169], s[14:15], -v[234:235]
	v_fma_f64 v[110:111], s[20:21], v[196:197], v[236:237]
	v_add_f64 v[108:109], v[108:109], v[242:243]
	v_add_f64 v[110:111], v[110:111], v[244:245]
	s_barrier
	s_and_saveexec_b64 s[30:31], s[0:1]
	s_cbranch_execz .LBB0_17
; %bb.16:
	v_accvgpr_write_b32 a0, v238
	v_accvgpr_write_b32 a1, v239
	v_mul_f64 v[238:239], v[124:125], s[26:27]
	v_mul_f64 v[254:255], v[118:119], s[22:23]
	;; [unrolled: 1-line block ×3, first 2 shown]
	v_accvgpr_write_b32 a36, v50
	v_add_f64 v[184:185], v[184:185], -v[238:239]
	v_mul_f64 v[34:35], v[126:127], s[28:29]
	v_accvgpr_write_b32 a37, v51
	v_accvgpr_write_b32 a38, v52
	;; [unrolled: 1-line block ×3, first 2 shown]
	v_mul_f64 v[52:53], v[156:157], s[24:25]
	v_mul_f64 v[244:245], v[196:197], s[20:21]
	v_add_f64 v[36:37], v[212:213], -v[36:37]
	v_add_f64 v[184:185], v[62:63], v[184:185]
	v_add_f64 v[176:177], v[254:255], v[176:177]
	v_mul_f64 v[50:51], v[136:137], s[18:19]
	v_add_f64 v[236:237], v[236:237], -v[244:245]
	v_mul_f64 v[244:245], v[178:179], s[42:43]
	v_add_f64 v[52:53], v[224:225], -v[52:53]
	v_add_f64 v[36:37], v[36:37], v[184:185]
	v_add_f64 v[34:35], v[34:35], v[198:199]
	;; [unrolled: 1-line block ×3, first 2 shown]
	v_mul_f64 v[132:133], v[152:153], s[4:5]
	v_add_f64 v[232:233], v[232:233], -v[244:245]
	v_add_f64 v[36:37], v[52:53], v[36:37]
	v_add_f64 v[50:51], v[50:51], v[218:219]
	;; [unrolled: 1-line block ×3, first 2 shown]
	v_accvgpr_write_b32 a16, v250
	v_accvgpr_write_b32 a12, v38
	;; [unrolled: 1-line block ×3, first 2 shown]
	v_add_f64 v[36:37], v[232:233], v[36:37]
	v_mul_f64 v[232:233], v[168:169], s[14:15]
	v_add_f64 v[132:133], v[132:133], v[228:229]
	v_add_f64 v[34:35], v[50:51], v[34:35]
	v_accvgpr_write_b32 a17, v251
	v_accvgpr_write_b32 a18, v252
	v_accvgpr_write_b32 a19, v253
	v_mul_f64 v[252:253], v[124:125], s[24:25]
	v_accvgpr_write_b32 a13, v39
	v_accvgpr_write_b32 a14, v40
	;; [unrolled: 1-line block ×6, first 2 shown]
	v_mul_f64 v[48:49], v[156:157], s[34:35]
	v_mul_f64 v[38:39], v[178:179], s[26:27]
	v_add_f64 v[236:237], v[236:237], v[36:37]
	v_add_f64 v[36:37], v[232:233], v[234:235]
	;; [unrolled: 1-line block ×3, first 2 shown]
	v_mul_f64 v[28:29], v[118:119], s[4:5]
	v_mul_f64 v[32:33], v[140:141], s[40:41]
	v_add_f64 v[234:235], v[36:37], v[34:35]
	v_add_f64 v[36:37], v[222:223], -v[38:39]
	v_add_f64 v[38:39], v[210:211], -v[48:49]
	;; [unrolled: 1-line block ×3, first 2 shown]
	v_accvgpr_write_b32 a41, v29
	v_add_f64 v[32:33], v[186:187], -v[32:33]
	v_add_f64 v[48:49], v[62:63], v[48:49]
	v_accvgpr_write_b32 a40, v28
	v_mul_f64 v[28:29], v[124:125], s[16:17]
	v_mul_f64 v[250:251], v[118:119], s[18:19]
	v_add_f64 v[32:33], v[32:33], v[48:49]
	v_accvgpr_write_b32 a47, v29
	v_mul_f64 v[30:31], v[126:127], s[14:15]
	v_add_f64 v[32:33], v[38:39], v[32:33]
	v_add_f64 v[38:39], v[250:251], v[154:155]
	v_accvgpr_write_b32 a46, v28
	v_accvgpr_write_b32 a4, v246
	v_mul_f64 v[28:29], v[126:127], s[18:19]
	v_mul_f64 v[46:47], v[136:137], s[28:29]
	v_add_f64 v[30:31], v[30:31], v[180:181]
	v_add_f64 v[38:39], v[60:61], v[38:39]
	v_accvgpr_write_b32 a5, v247
	v_accvgpr_write_b32 a6, v248
	;; [unrolled: 1-line block ×3, first 2 shown]
	v_mul_f64 v[248:249], v[124:125], s[20:21]
	v_accvgpr_write_b32 a43, v29
	v_mul_f64 v[52:53], v[196:197], s[42:43]
	v_add_f64 v[32:33], v[36:37], v[32:33]
	v_add_f64 v[36:37], v[46:47], v[204:205]
	;; [unrolled: 1-line block ×3, first 2 shown]
	v_accvgpr_write_b32 a42, v28
	v_mul_f64 v[28:29], v[140:141], s[38:39]
	v_accvgpr_write_b32 a24, v42
	v_mul_f64 v[240:241], v[152:153], s[22:23]
	v_add_f64 v[34:35], v[230:231], -v[52:53]
	v_add_f64 v[30:31], v[36:37], v[30:31]
	v_add_f64 v[36:37], v[142:143], -v[248:249]
	v_accvgpr_write_b32 a25, v43
	v_accvgpr_write_b32 a26, v44
	;; [unrolled: 1-line block ×3, first 2 shown]
	v_mul_f64 v[44:45], v[156:157], s[42:43]
	v_add_f64 v[186:187], v[34:35], v[32:33]
	v_add_f64 v[34:35], v[240:241], v[216:217]
	v_add_f64 v[28:29], v[166:167], -v[28:29]
	v_add_f64 v[36:37], v[62:63], v[36:37]
	v_mul_f64 v[246:247], v[118:119], s[14:15]
	v_accvgpr_write_b32 a45, v27
	v_add_f64 v[30:31], v[34:35], v[30:31]
	v_add_f64 v[34:35], v[192:193], -v[44:45]
	v_add_f64 v[28:29], v[28:29], v[36:37]
	v_accvgpr_write_b32 a44, v26
	v_mul_f64 v[26:27], v[126:127], s[22:23]
	v_add_f64 v[28:29], v[34:35], v[28:29]
	v_add_f64 v[34:35], v[246:247], v[138:139]
	v_mul_f64 v[184:185], v[168:169], s[4:5]
	v_add_f64 v[26:27], v[26:27], v[160:161]
	v_add_f64 v[34:35], v[60:61], v[34:35]
	v_mul_f64 v[58:59], v[136:137], s[22:23]
	v_mul_f64 v[128:129], v[178:179], s[34:35]
	v_add_f64 v[32:33], v[184:185], v[226:227]
	v_add_f64 v[26:27], v[26:27], v[34:35]
	v_accvgpr_read_b32 v34, a46
	v_accvgpr_write_b32 a48, v58
	v_mul_f64 v[42:43], v[136:137], s[4:5]
	v_mul_f64 v[238:239], v[196:197], s[24:25]
	v_add_f64 v[184:185], v[32:33], v[30:31]
	v_add_f64 v[32:33], v[208:209], -v[128:129]
	v_accvgpr_read_b32 v35, a47
	v_mul_f64 v[242:243], v[140:141], s[24:25]
	v_accvgpr_write_b32 a49, v59
	v_mul_f64 v[58:59], v[152:153], s[28:29]
	v_add_f64 v[30:31], v[220:221], -v[238:239]
	v_add_f64 v[28:29], v[32:33], v[28:29]
	v_add_f64 v[32:33], v[42:43], v[182:183]
	v_add_f64 v[24:25], v[24:25], -v[34:35]
	v_mul_f64 v[40:41], v[156:157], s[38:39]
	v_accvgpr_write_b32 a8, v54
	v_mul_f64 v[212:213], v[168:169], s[18:19]
	v_add_f64 v[162:163], v[30:31], v[28:29]
	v_add_f64 v[30:31], v[58:59], v[202:203]
	;; [unrolled: 1-line block ×3, first 2 shown]
	v_add_f64 v[32:33], v[148:149], -v[242:243]
	v_add_f64 v[24:25], v[62:63], v[24:25]
	v_accvgpr_write_b32 a9, v55
	v_accvgpr_write_b32 a10, v56
	;; [unrolled: 1-line block ×3, first 2 shown]
	v_mul_f64 v[56:57], v[178:179], s[40:41]
	v_add_f64 v[28:29], v[212:213], v[214:215]
	v_add_f64 v[26:27], v[30:31], v[26:27]
	v_add_f64 v[30:31], v[172:173], -v[40:41]
	v_add_f64 v[24:25], v[32:33], v[24:25]
	v_accvgpr_read_b32 v32, a40
	v_accvgpr_read_b32 v34, a44
	v_add_f64 v[160:161], v[28:29], v[26:27]
	v_add_f64 v[28:29], v[194:195], -v[56:57]
	v_add_f64 v[24:25], v[30:31], v[24:25]
	v_accvgpr_read_b32 v30, a42
	v_accvgpr_read_b32 v33, a41
	;; [unrolled: 1-line block ×3, first 2 shown]
	v_add_f64 v[24:25], v[28:29], v[24:25]
	v_accvgpr_read_b32 v28, a48
	v_accvgpr_read_b32 v31, a43
	v_add_f64 v[32:33], v[32:33], v[34:35]
	v_mul_f64 v[224:225], v[196:197], s[36:37]
	v_accvgpr_read_b32 v29, a49
	v_add_f64 v[30:31], v[30:31], v[146:147]
	v_add_f64 v[32:33], v[60:61], v[32:33]
	v_mul_f64 v[40:41], v[124:125], s[34:35]
	v_mul_f64 v[54:55], v[152:153], s[14:15]
	v_add_f64 v[26:27], v[206:207], -v[224:225]
	v_add_f64 v[28:29], v[28:29], v[164:165]
	v_add_f64 v[30:31], v[30:31], v[32:33]
	v_mul_f64 v[36:37], v[140:141], s[16:17]
	v_fma_f64 v[42:43], s[28:29], v[120:121], v[40:41]
	v_mul_f64 v[244:245], v[168:169], s[28:29]
	v_add_f64 v[148:149], v[26:27], v[24:25]
	v_add_f64 v[26:27], v[54:55], v[190:191]
	;; [unrolled: 1-line block ×3, first 2 shown]
	v_mul_f64 v[32:33], v[156:157], s[20:21]
	v_fma_f64 v[38:39], s[4:5], v[130:131], v[36:37]
	v_add_f64 v[42:43], v[62:63], v[42:43]
	v_mul_f64 v[50:51], v[122:123], s[34:35]
	v_add_f64 v[24:25], v[244:245], v[200:201]
	v_add_f64 v[26:27], v[26:27], v[28:29]
	v_mul_f64 v[28:29], v[178:179], s[24:25]
	v_fma_f64 v[34:35], s[14:15], v[144:145], v[32:33]
	v_add_f64 v[38:39], v[38:39], v[42:43]
	v_mul_f64 v[46:47], v[134:135], s[16:17]
	v_fma_f64 v[52:53], v[118:119], s[28:29], -v[50:51]
	v_add_f64 v[146:147], v[24:25], v[26:27]
	v_mul_f64 v[24:25], v[196:197], s[26:27]
	v_fma_f64 v[30:31], s[18:19], v[158:159], v[28:29]
	v_add_f64 v[34:35], v[34:35], v[38:39]
	v_mul_f64 v[42:43], v[150:151], s[20:21]
	v_fma_f64 v[48:49], v[126:127], s[4:5], -v[46:47]
	v_add_f64 v[52:53], v[60:61], v[52:53]
	v_fma_f64 v[26:27], s[22:23], v[174:175], v[24:25]
	v_add_f64 v[30:31], v[30:31], v[34:35]
	v_mul_f64 v[34:35], v[170:171], s[24:25]
	v_fma_f64 v[44:45], v[136:137], s[14:15], -v[42:43]
	v_add_f64 v[48:49], v[48:49], v[52:53]
	v_add_f64 v[124:125], v[26:27], v[30:31]
	v_mul_f64 v[26:27], v[188:189], s[26:27]
	v_fma_f64 v[38:39], v[152:153], s[18:19], -v[34:35]
	v_add_f64 v[44:45], v[44:45], v[48:49]
	v_fma_f64 v[30:31], v[168:169], s[22:23], -v[26:27]
	v_add_f64 v[38:39], v[38:39], v[44:45]
	v_add_f64 v[122:123], v[30:31], v[38:39]
	v_fma_f64 v[30:31], v[144:145], s[14:15], -v[32:33]
	v_fma_f64 v[32:33], v[130:131], s[4:5], -v[36:37]
	;; [unrolled: 1-line block ×3, first 2 shown]
	v_add_f64 v[36:37], v[62:63], v[36:37]
	v_add_f64 v[32:33], v[32:33], v[36:37]
	v_fma_f64 v[28:29], v[158:159], s[18:19], -v[28:29]
	v_add_f64 v[30:31], v[30:31], v[32:33]
	v_fma_f64 v[24:25], v[174:175], s[22:23], -v[24:25]
	v_add_f64 v[28:29], v[28:29], v[30:31]
	v_fmac_f64_e32 v[50:51], s[28:29], v[118:119]
	v_add_f64 v[120:121], v[24:25], v[28:29]
	v_fmac_f64_e32 v[46:47], s[4:5], v[126:127]
	;; [unrolled: 2-line block ×5, first 2 shown]
	v_add_f64 v[24:25], v[34:35], v[24:25]
	v_add_f64 v[118:119], v[26:27], v[24:25]
	;; [unrolled: 1-line block ×21, first 2 shown]
	v_accvgpr_read_b32 v253, a19
	v_accvgpr_read_b32 v249, a7
	;; [unrolled: 1-line block ×7, first 2 shown]
	v_add_f64 v[0:1], v[24:25], v[0:1]
	v_accvgpr_read_b32 v24, a2
	v_accvgpr_read_b32 v252, a18
	;; [unrolled: 1-line block ×24, first 2 shown]
	v_lshlrev_b32_e32 v24, 4, v24
	ds_write_b128 v24, v[0:3]
	ds_write_b128 v24, v[118:121] offset:16
	ds_write_b128 v24, v[146:149] offset:32
	;; [unrolled: 1-line block ×10, first 2 shown]
.LBB0_17:
	s_or_b64 exec, exec, s[30:31]
	s_waitcnt lgkmcnt(0)
	s_barrier
	ds_read_b128 v[60:63], v117
	ds_read_b128 v[0:3], v117 offset:1760
	ds_read_b128 v[64:67], v117 offset:3520
	;; [unrolled: 1-line block ×5, first 2 shown]
	s_waitcnt lgkmcnt(4)
	v_mul_f64 v[24:25], v[18:19], v[2:3]
	v_fmac_f64_e32 v[24:25], v[16:17], v[0:1]
	v_mul_f64 v[0:1], v[18:19], v[0:1]
	v_fma_f64 v[18:19], v[16:17], v[2:3], -v[0:1]
	s_waitcnt lgkmcnt(3)
	v_mul_f64 v[0:1], v[14:15], v[66:67]
	v_mul_f64 v[2:3], v[14:15], v[64:65]
	v_fmac_f64_e32 v[0:1], v[12:13], v[64:65]
	v_fma_f64 v[2:3], v[12:13], v[66:67], -v[2:3]
	s_waitcnt lgkmcnt(2)
	v_mul_f64 v[12:13], v[10:11], v[70:71]
	v_mul_f64 v[10:11], v[10:11], v[68:69]
	v_fmac_f64_e32 v[12:13], v[8:9], v[68:69]
	;; [unrolled: 5-line block ×3, first 2 shown]
	v_fma_f64 v[4:5], v[4:5], v[74:75], -v[6:7]
	s_waitcnt lgkmcnt(0)
	v_mul_f64 v[6:7], v[22:23], v[78:79]
	v_mul_f64 v[14:15], v[22:23], v[76:77]
	v_add_f64 v[16:17], v[60:61], v[0:1]
	v_fmac_f64_e32 v[6:7], v[20:21], v[76:77]
	v_fma_f64 v[14:15], v[20:21], v[78:79], -v[14:15]
	v_add_f64 v[20:21], v[16:17], v[10:11]
	v_add_f64 v[16:17], v[0:1], v[10:11]
	s_mov_b32 s4, 0xe8584caa
	v_fmac_f64_e32 v[60:61], -0.5, v[16:17]
	v_add_f64 v[16:17], v[2:3], -v[4:5]
	s_mov_b32 s5, 0xbfebb67a
	s_mov_b32 s15, 0x3febb67a
	s_mov_b32 s14, s4
	v_fma_f64 v[22:23], s[4:5], v[16:17], v[60:61]
	v_fmac_f64_e32 v[60:61], s[14:15], v[16:17]
	v_add_f64 v[16:17], v[62:63], v[2:3]
	v_add_f64 v[2:3], v[2:3], v[4:5]
	v_fmac_f64_e32 v[62:63], -0.5, v[2:3]
	v_add_f64 v[0:1], v[0:1], -v[10:11]
	v_fma_f64 v[28:29], s[14:15], v[0:1], v[62:63]
	v_fmac_f64_e32 v[62:63], s[4:5], v[0:1]
	v_add_f64 v[0:1], v[24:25], v[12:13]
	v_add_f64 v[10:11], v[0:1], v[6:7]
	;; [unrolled: 1-line block ×3, first 2 shown]
	v_fmac_f64_e32 v[24:25], -0.5, v[0:1]
	v_add_f64 v[0:1], v[8:9], -v[14:15]
	v_fma_f64 v[30:31], s[4:5], v[0:1], v[24:25]
	v_fmac_f64_e32 v[24:25], s[14:15], v[0:1]
	v_add_f64 v[0:1], v[18:19], v[8:9]
	v_add_f64 v[32:33], v[0:1], v[14:15]
	;; [unrolled: 1-line block ×3, first 2 shown]
	v_fmac_f64_e32 v[18:19], -0.5, v[0:1]
	v_add_f64 v[0:1], v[12:13], -v[6:7]
	v_fma_f64 v[6:7], s[14:15], v[0:1], v[18:19]
	v_fmac_f64_e32 v[18:19], s[4:5], v[0:1]
	v_mul_f64 v[12:13], v[6:7], s[4:5]
	v_mul_f64 v[34:35], v[6:7], 0.5
	v_fmac_f64_e32 v[12:13], 0.5, v[30:31]
	v_mul_f64 v[14:15], v[18:19], s[4:5]
	v_fmac_f64_e32 v[34:35], s[14:15], v[30:31]
	v_mul_f64 v[30:31], v[18:19], -0.5
	v_add_f64 v[26:27], v[16:17], v[4:5]
	v_fmac_f64_e32 v[14:15], -0.5, v[24:25]
	v_fmac_f64_e32 v[30:31], s[14:15], v[24:25]
	v_add_f64 v[0:1], v[20:21], v[10:11]
	v_add_f64 v[4:5], v[22:23], v[12:13]
	v_add_f64 v[16:17], v[60:61], v[14:15]
	v_add_f64 v[2:3], v[26:27], v[32:33]
	v_add_f64 v[6:7], v[28:29], v[34:35]
	v_add_f64 v[18:19], v[62:63], v[30:31]
	v_add_f64 v[8:9], v[20:21], -v[10:11]
	v_add_f64 v[20:21], v[22:23], -v[12:13]
	;; [unrolled: 1-line block ×6, first 2 shown]
	s_barrier
	ds_write_b128 v116, v[0:3]
	ds_write_b128 v116, v[4:7] offset:176
	ds_write_b128 v116, v[16:19] offset:352
	;; [unrolled: 1-line block ×5, first 2 shown]
	s_waitcnt lgkmcnt(0)
	s_barrier
	s_and_saveexec_b64 s[4:5], s[2:3]
	s_cbranch_execz .LBB0_19
; %bb.18:
	ds_read_b128 v[0:3], v117
	ds_read_b128 v[4:7], v117 offset:1056
	ds_read_b128 v[16:19], v117 offset:2112
	ds_read_b128 v[8:11], v117 offset:3168
	ds_read_b128 v[20:23], v117 offset:4224
	ds_read_b128 v[12:15], v117 offset:5280
	ds_read_b128 v[108:111], v117 offset:6336
	ds_read_b128 v[100:103], v117 offset:7392
	ds_read_b128 v[112:115], v117 offset:8448
	ds_read_b128 v[104:107], v117 offset:9504
.LBB0_19:
	s_or_b64 exec, exec, s[4:5]
	s_and_saveexec_b64 s[4:5], s[2:3]
	s_cbranch_execz .LBB0_21
; %bb.20:
	s_waitcnt lgkmcnt(5)
	v_mul_f64 v[26:27], v[40:41], v[20:21]
	v_mul_f64 v[36:37], v[40:41], v[22:23]
	;; [unrolled: 1-line block ×3, first 2 shown]
	v_accvgpr_read_b32 v69, a35
	v_fmac_f64_e32 v[40:41], v[54:55], v[8:9]
	v_accvgpr_read_b32 v65, a23
	v_accvgpr_read_b32 v68, a34
	v_mul_f64 v[8:9], v[56:57], v[8:9]
	v_mul_f64 v[24:25], v[44:45], v[16:17]
	v_accvgpr_read_b32 v64, a22
	v_accvgpr_read_b32 v67, a33
	;; [unrolled: 1-line block ×3, first 2 shown]
	v_fma_f64 v[10:11], v[54:55], v[10:11], -v[8:9]
	s_waitcnt lgkmcnt(0)
	v_mul_f64 v[8:9], v[68:69], v[104:105]
	v_fma_f64 v[24:25], v[42:43], v[18:19], -v[24:25]
	v_mul_f64 v[18:19], v[44:45], v[18:19]
	v_accvgpr_read_b32 v63, a21
	v_accvgpr_read_b32 v62, a20
	v_fma_f64 v[54:55], v[66:67], v[106:107], -v[8:9]
	v_mul_f64 v[8:9], v[64:65], v[12:13]
	v_fma_f64 v[28:29], v[38:39], v[22:23], -v[26:27]
	v_mul_f64 v[32:33], v[48:49], v[108:109]
	v_fmac_f64_e32 v[18:19], v[42:43], v[16:17]
	v_fmac_f64_e32 v[36:37], v[38:39], v[20:21]
	v_mul_f64 v[38:39], v[48:49], v[110:111]
	v_mul_f64 v[42:43], v[64:65], v[14:15]
	v_fma_f64 v[14:15], v[62:63], v[14:15], -v[8:9]
	v_mul_f64 v[8:9], v[252:253], v[100:101]
	v_mul_f64 v[30:31], v[52:53], v[112:113]
	v_fma_f64 v[32:33], v[46:47], v[110:111], -v[32:33]
	v_fmac_f64_e32 v[38:39], v[46:47], v[108:109]
	v_fmac_f64_e32 v[42:43], v[62:63], v[12:13]
	v_mul_f64 v[46:47], v[68:69], v[106:107]
	v_mul_f64 v[48:49], v[252:253], v[102:103]
	v_fma_f64 v[62:63], v[250:251], v[102:103], -v[8:9]
	v_fma_f64 v[30:31], v[50:51], v[114:115], -v[30:31]
	v_mul_f64 v[16:17], v[52:53], v[114:115]
	v_fmac_f64_e32 v[46:47], v[66:67], v[104:105]
	v_fmac_f64_e32 v[48:49], v[250:251], v[100:101]
	v_add_f64 v[8:9], v[10:11], -v[14:15]
	v_add_f64 v[12:13], v[54:55], -v[62:63]
	v_add_f64 v[26:27], v[24:25], -v[28:29]
	v_add_f64 v[34:35], v[30:31], -v[32:33]
	v_fmac_f64_e32 v[16:17], v[50:51], v[112:113]
	v_add_f64 v[22:23], v[40:41], -v[42:43]
	v_add_f64 v[50:51], v[46:47], -v[48:49]
	v_add_f64 v[66:67], v[8:9], v[12:13]
	v_add_f64 v[8:9], v[28:29], -v[24:25]
	v_add_f64 v[12:13], v[32:33], -v[30:31]
	v_add_f64 v[26:27], v[26:27], v[34:35]
	v_add_f64 v[34:35], v[28:29], v[32:33]
	v_add_f64 v[22:23], v[22:23], v[50:51]
	v_mul_f64 v[50:51], v[248:249], v[6:7]
	v_add_f64 v[12:13], v[8:9], v[12:13]
	v_add_f64 v[8:9], v[24:25], v[30:31]
	v_fma_f64 v[60:61], -0.5, v[34:35], v[2:3]
	s_mov_b32 s2, 0x134454ff
	v_fmac_f64_e32 v[50:51], v[246:247], v[4:5]
	v_add_f64 v[52:53], v[42:43], v[48:49]
	v_fma_f64 v[78:79], -0.5, v[8:9], v[2:3]
	v_add_f64 v[8:9], v[42:43], -v[40:41]
	v_add_f64 v[82:83], v[48:49], -v[46:47]
	v_add_f64 v[2:3], v[2:3], v[24:25]
	s_mov_b32 s3, 0xbfee6f0e
	s_mov_b32 s14, 0x4755a5e
	v_fma_f64 v[52:53], -0.5, v[52:53], v[50:51]
	v_add_f64 v[56:57], v[10:11], -v[54:55]
	s_mov_b32 s19, 0x3fee6f0e
	s_mov_b32 s18, s2
	v_mul_f64 v[4:5], v[248:249], v[4:5]
	v_add_f64 v[82:83], v[8:9], v[82:83]
	v_add_f64 v[8:9], v[40:41], v[46:47]
	v_add_f64 v[2:3], v[2:3], v[28:29]
	s_mov_b32 s15, 0xbfe2cf23
	v_fma_f64 v[58:59], s[18:19], v[56:57], v[52:53]
	v_add_f64 v[64:65], v[14:15], -v[62:63]
	s_mov_b32 s21, 0x3fe2cf23
	s_mov_b32 s20, s14
	v_fma_f64 v[6:7], v[246:247], v[6:7], -v[4:5]
	v_fma_f64 v[84:85], -0.5, v[8:9], v[50:51]
	v_fmac_f64_e32 v[52:53], s[2:3], v[56:57]
	v_add_f64 v[2:3], v[2:3], v[32:33]
	v_fmac_f64_e32 v[58:59], s[20:21], v[64:65]
	v_add_f64 v[4:5], v[14:15], v[62:63]
	v_fma_f64 v[86:87], s[2:3], v[64:65], v[84:85]
	v_fmac_f64_e32 v[84:85], s[18:19], v[64:65]
	v_fmac_f64_e32 v[52:53], s[14:15], v[64:65]
	v_add_f64 v[64:65], v[2:3], v[30:31]
	v_add_f64 v[2:3], v[6:7], v[10:11]
	v_fma_f64 v[68:69], -0.5, v[4:5], v[6:7]
	v_add_f64 v[70:71], v[40:41], -v[46:47]
	v_add_f64 v[8:9], v[14:15], -v[10:11]
	;; [unrolled: 1-line block ×3, first 2 shown]
	v_add_f64 v[2:3], v[2:3], v[14:15]
	v_add_f64 v[34:35], v[18:19], -v[16:17]
	s_mov_b32 s16, 0x372fe950
	v_fma_f64 v[72:73], s[2:3], v[70:71], v[68:69]
	v_add_f64 v[74:75], v[42:43], -v[48:49]
	v_add_f64 v[88:89], v[8:9], v[88:89]
	v_add_f64 v[8:9], v[10:11], v[54:55]
	;; [unrolled: 1-line block ×3, first 2 shown]
	v_fma_f64 v[44:45], s[2:3], v[34:35], v[60:61]
	v_add_f64 v[20:21], v[36:37], -v[38:39]
	s_mov_b32 s17, 0x3fd3c6ef
	v_fmac_f64_e32 v[72:73], s[14:15], v[74:75]
	s_mov_b32 s22, 0x9b97f4a8
	v_fma_f64 v[90:91], -0.5, v[8:9], v[6:7]
	v_fmac_f64_e32 v[60:61], s[18:19], v[34:35]
	v_add_f64 v[14:15], v[2:3], v[54:55]
	v_add_f64 v[2:3], v[18:19], -v[36:37]
	v_add_f64 v[6:7], v[16:17], -v[38:39]
	v_fmac_f64_e32 v[44:45], s[14:15], v[20:21]
	v_fmac_f64_e32 v[72:73], s[16:17], v[66:67]
	s_mov_b32 s23, 0xbfe9e377
	v_fma_f64 v[80:81], s[18:19], v[20:21], v[78:79]
	v_fmac_f64_e32 v[78:79], s[2:3], v[20:21]
	v_fmac_f64_e32 v[60:61], s[20:21], v[20:21]
	v_add_f64 v[20:21], v[2:3], v[6:7]
	v_add_f64 v[6:7], v[36:37], -v[18:19]
	v_add_f64 v[10:11], v[38:39], -v[16:17]
	v_fmac_f64_e32 v[58:59], s[16:17], v[22:23]
	v_mul_f64 v[76:77], v[72:73], s[22:23]
	v_add_f64 v[2:3], v[36:37], v[38:39]
	v_add_f64 v[28:29], v[28:29], -v[32:33]
	v_mul_f64 v[32:33], v[72:73], s[14:15]
	v_add_f64 v[10:11], v[6:7], v[10:11]
	v_add_f64 v[6:7], v[18:19], v[16:17]
	v_fmac_f64_e32 v[76:77], s[20:21], v[58:59]
	v_fma_f64 v[54:55], -0.5, v[2:3], v[0:1]
	v_fmac_f64_e32 v[32:33], s[22:23], v[58:59]
	v_fma_f64 v[58:59], -0.5, v[6:7], v[0:1]
	v_add_f64 v[0:1], v[0:1], v[18:19]
	v_add_f64 v[0:1], v[0:1], v[36:37]
	;; [unrolled: 1-line block ×3, first 2 shown]
	v_fma_f64 v[92:93], s[18:19], v[74:75], v[90:91]
	v_fmac_f64_e32 v[90:91], s[2:3], v[74:75]
	v_fmac_f64_e32 v[68:69], s[18:19], v[70:71]
	v_add_f64 v[0:1], v[0:1], v[16:17]
	v_add_f64 v[16:17], v[50:51], v[40:41]
	v_fmac_f64_e32 v[92:93], s[14:15], v[70:71]
	v_fmac_f64_e32 v[90:91], s[20:21], v[70:71]
	;; [unrolled: 1-line block ×3, first 2 shown]
	v_add_f64 v[24:25], v[24:25], -v[30:31]
	v_add_f64 v[16:17], v[16:17], v[42:43]
	v_fmac_f64_e32 v[86:87], s[20:21], v[56:57]
	v_fmac_f64_e32 v[92:93], s[16:17], v[88:89]
	s_mov_b32 s25, 0xbfd3c6ef
	s_mov_b32 s24, s16
	v_fmac_f64_e32 v[84:85], s[14:15], v[56:57]
	v_fmac_f64_e32 v[90:91], s[16:17], v[88:89]
	;; [unrolled: 1-line block ×3, first 2 shown]
	s_mov_b32 s27, 0x3fe9e377
	s_mov_b32 s26, s22
	v_fma_f64 v[62:63], s[18:19], v[24:25], v[54:55]
	v_fma_f64 v[66:67], s[2:3], v[28:29], v[58:59]
	v_fmac_f64_e32 v[58:59], s[18:19], v[28:29]
	v_fmac_f64_e32 v[54:55], s[2:3], v[24:25]
	v_add_f64 v[16:17], v[16:17], v[48:49]
	v_fmac_f64_e32 v[80:81], s[14:15], v[34:35]
	v_fmac_f64_e32 v[86:87], s[16:17], v[82:83]
	v_mul_f64 v[94:95], v[92:93], s[24:25]
	v_fmac_f64_e32 v[78:79], s[20:21], v[34:35]
	v_fmac_f64_e32 v[84:85], s[16:17], v[82:83]
	v_mul_f64 v[82:83], v[90:91], s[16:17]
	v_fmac_f64_e32 v[52:53], s[16:17], v[22:23]
	v_mul_f64 v[56:57], v[68:69], s[26:27]
	v_fmac_f64_e32 v[62:63], s[20:21], v[28:29]
	v_fmac_f64_e32 v[66:67], s[20:21], v[24:25]
	v_mul_f64 v[70:71], v[92:93], s[2:3]
	v_fmac_f64_e32 v[58:59], s[14:15], v[24:25]
	v_mul_f64 v[72:73], v[90:91], s[2:3]
	;; [unrolled: 2-line block ×3, first 2 shown]
	v_add_f64 v[18:19], v[16:17], v[46:47]
	v_fmac_f64_e32 v[44:45], s[16:17], v[26:27]
	v_fmac_f64_e32 v[80:81], s[16:17], v[12:13]
	;; [unrolled: 1-line block ×14, first 2 shown]
	v_add_f64 v[42:43], v[64:65], v[14:15]
	v_add_f64 v[40:41], v[0:1], v[18:19]
	v_add_f64 v[4:5], v[44:45], -v[76:77]
	v_add_f64 v[8:9], v[80:81], -v[94:95]
	;; [unrolled: 1-line block ×10, first 2 shown]
	v_add_f64 v[16:17], v[44:45], v[76:77]
	v_add_f64 v[30:31], v[80:81], v[94:95]
	;; [unrolled: 1-line block ×8, first 2 shown]
	ds_write_b128 v117, v[40:43]
	ds_write_b128 v117, v[36:39] offset:1056
	ds_write_b128 v117, v[32:35] offset:2112
	;; [unrolled: 1-line block ×9, first 2 shown]
.LBB0_21:
	s_or_b64 exec, exec, s[4:5]
	s_waitcnt lgkmcnt(0)
	s_barrier
	s_and_b64 exec, exec, s[0:1]
	s_cbranch_execz .LBB0_23
; %bb.22:
	global_load_dwordx4 v[0:3], v117, s[12:13]
	global_load_dwordx4 v[4:7], v117, s[12:13] offset:960
	global_load_dwordx4 v[8:11], v117, s[12:13] offset:1920
	;; [unrolled: 1-line block ×3, first 2 shown]
	v_mov_b32_e32 v32, s13
	v_mad_u64_u32 v[30:31], s[2:3], s8, v239, 0
	v_add_co_u32_e32 v56, vcc, s12, v117
	ds_read_b128 v[20:23], v117
	ds_read_b128 v[16:19], v117 offset:960
	global_load_dwordx4 v[24:27], v117, s[12:13] offset:3840
	s_movk_i32 s3, 0x1000
	v_addc_co_u32_e32 v57, vcc, 0, v32, vcc
	v_add_co_u32_e32 v68, vcc, s3, v56
	v_addc_co_u32_e32 v69, vcc, 0, v57, vcc
	global_load_dwordx4 v[32:35], v[68:69], off offset:704
	v_mad_u64_u32 v[28:29], s[0:1], s10, v238, 0
	v_mov_b32_e32 v48, v29
	v_mov_b32_e32 v50, v31
	ds_read_b128 v[36:39], v117 offset:1920
	ds_read_b128 v[40:43], v117 offset:2880
	v_mad_u64_u32 v[52:53], s[4:5], s11, v238, v[48:49]
	v_mad_u64_u32 v[54:55], s[4:5], s9, v239, v[50:51]
	global_load_dwordx4 v[48:51], v[68:69], off offset:1664
	s_movk_i32 s3, 0x2000
	v_add_co_u32_e32 v70, vcc, s3, v56
	ds_read_b128 v[44:47], v117 offset:9600
	v_addc_co_u32_e32 v71, vcc, 0, v57, vcc
	v_mov_b32_e32 v29, v52
	v_mov_b32_e32 v31, v54
	global_load_dwordx4 v[52:55], v[68:69], off offset:2624
	global_load_dwordx4 v[56:59], v[68:69], off offset:3584
	;; [unrolled: 1-line block ×4, first 2 shown]
	v_lshlrev_b64 v[28:29], 4, v[28:29]
	v_mov_b32_e32 v72, s7
	v_add_co_u32_e32 v28, vcc, s6, v28
	v_lshlrev_b64 v[30:31], 4, v[30:31]
	v_addc_co_u32_e32 v29, vcc, v72, v29, vcc
	v_add_co_u32_e32 v28, vcc, v28, v30
	v_mov_b32_e32 v76, 0x3c0
	v_addc_co_u32_e32 v29, vcc, v29, v31, vcc
	s_mov_b32 s0, 0x8d3018d3
	s_mul_i32 s2, s9, 0x3c0
	v_mad_u64_u32 v[30:31], s[4:5], s8, v76, v[28:29]
	s_mov_b32 s1, 0x3f58d301
	v_add_u32_e32 v31, s2, v31
	v_mad_u64_u32 v[68:69], s[4:5], s8, v76, v[30:31]
	v_add_u32_e32 v69, s2, v69
	s_waitcnt vmcnt(10) lgkmcnt(4)
	v_mul_f64 v[70:71], v[22:23], v[2:3]
	v_mul_f64 v[2:3], v[20:21], v[2:3]
	s_waitcnt vmcnt(9) lgkmcnt(3)
	v_mul_f64 v[72:73], v[18:19], v[6:7]
	v_mul_f64 v[6:7], v[16:17], v[6:7]
	;; [unrolled: 3-line block ×3, first 2 shown]
	v_fmac_f64_e32 v[70:71], v[20:21], v[0:1]
	v_fma_f64 v[2:3], v[0:1], v[22:23], -v[2:3]
	v_fmac_f64_e32 v[72:73], v[16:17], v[4:5]
	v_fma_f64 v[6:7], v[4:5], v[18:19], -v[6:7]
	;; [unrolled: 2-line block ×3, first 2 shown]
	v_mul_f64 v[0:1], v[70:71], s[0:1]
	v_mul_f64 v[2:3], v[2:3], s[0:1]
	;; [unrolled: 1-line block ×6, first 2 shown]
	global_store_dwordx4 v[28:29], v[0:3], off
	global_store_dwordx4 v[30:31], v[4:7], off
	;; [unrolled: 1-line block ×3, first 2 shown]
	s_waitcnt vmcnt(10) lgkmcnt(1)
	v_mul_f64 v[0:1], v[42:43], v[14:15]
	v_mul_f64 v[2:3], v[40:41], v[14:15]
	ds_read_b128 v[4:7], v117 offset:3840
	v_fmac_f64_e32 v[0:1], v[40:41], v[12:13]
	v_fma_f64 v[2:3], v[12:13], v[42:43], -v[2:3]
	v_mad_u64_u32 v[12:13], s[4:5], s8, v76, v[68:69]
	v_mul_f64 v[0:1], v[0:1], s[0:1]
	v_mul_f64 v[2:3], v[2:3], s[0:1]
	v_add_u32_e32 v13, s2, v13
	global_store_dwordx4 v[12:13], v[0:3], off
	ds_read_b128 v[0:3], v117 offset:4800
	s_waitcnt vmcnt(10) lgkmcnt(1)
	v_mul_f64 v[8:9], v[6:7], v[26:27]
	v_fmac_f64_e32 v[8:9], v[4:5], v[24:25]
	v_mul_f64 v[4:5], v[4:5], v[26:27]
	v_fma_f64 v[4:5], v[24:25], v[6:7], -v[4:5]
	v_mul_f64 v[10:11], v[4:5], s[0:1]
	s_waitcnt vmcnt(9) lgkmcnt(0)
	v_mul_f64 v[4:5], v[2:3], v[34:35]
	v_fmac_f64_e32 v[4:5], v[0:1], v[32:33]
	v_mul_f64 v[0:1], v[0:1], v[34:35]
	v_mad_u64_u32 v[12:13], s[4:5], s8, v76, v[12:13]
	v_fma_f64 v[0:1], v[32:33], v[2:3], -v[0:1]
	v_mul_f64 v[8:9], v[8:9], s[0:1]
	v_add_u32_e32 v13, s2, v13
	v_mul_f64 v[6:7], v[0:1], s[0:1]
	ds_read_b128 v[0:3], v117 offset:5760
	global_store_dwordx4 v[12:13], v[8:11], off
	v_mad_u64_u32 v[12:13], s[4:5], s8, v76, v[12:13]
	v_mul_f64 v[4:5], v[4:5], s[0:1]
	v_add_u32_e32 v13, s2, v13
	global_store_dwordx4 v[12:13], v[4:7], off
	ds_read_b128 v[4:7], v117 offset:6720
	s_waitcnt vmcnt(10) lgkmcnt(1)
	v_mul_f64 v[8:9], v[2:3], v[50:51]
	v_fmac_f64_e32 v[8:9], v[0:1], v[48:49]
	v_mul_f64 v[0:1], v[0:1], v[50:51]
	v_fma_f64 v[0:1], v[48:49], v[2:3], -v[0:1]
	v_mul_f64 v[10:11], v[0:1], s[0:1]
	v_mad_u64_u32 v[12:13], s[4:5], s8, v76, v[12:13]
	s_waitcnt vmcnt(9) lgkmcnt(0)
	v_mul_f64 v[0:1], v[6:7], v[54:55]
	v_mul_f64 v[2:3], v[4:5], v[54:55]
	;; [unrolled: 1-line block ×3, first 2 shown]
	v_add_u32_e32 v13, s2, v13
	v_fmac_f64_e32 v[0:1], v[4:5], v[52:53]
	v_fma_f64 v[2:3], v[52:53], v[6:7], -v[2:3]
	ds_read_b128 v[4:7], v117 offset:7680
	global_store_dwordx4 v[12:13], v[8:11], off
	v_mad_u64_u32 v[12:13], s[4:5], s8, v76, v[12:13]
	v_mul_f64 v[0:1], v[0:1], s[0:1]
	v_mul_f64 v[2:3], v[2:3], s[0:1]
	v_add_u32_e32 v13, s2, v13
	global_store_dwordx4 v[12:13], v[0:3], off
	ds_read_b128 v[0:3], v117 offset:8640
	s_waitcnt vmcnt(10) lgkmcnt(1)
	v_mul_f64 v[8:9], v[6:7], v[58:59]
	v_fmac_f64_e32 v[8:9], v[4:5], v[56:57]
	v_mul_f64 v[4:5], v[4:5], v[58:59]
	v_fma_f64 v[4:5], v[56:57], v[6:7], -v[4:5]
	v_mul_f64 v[10:11], v[4:5], s[0:1]
	s_waitcnt vmcnt(9) lgkmcnt(0)
	v_mul_f64 v[4:5], v[2:3], v[62:63]
	v_mad_u64_u32 v[12:13], s[4:5], s8, v76, v[12:13]
	v_fmac_f64_e32 v[4:5], v[0:1], v[60:61]
	v_mul_f64 v[0:1], v[0:1], v[62:63]
	v_mul_f64 v[8:9], v[8:9], s[0:1]
	v_add_u32_e32 v13, s2, v13
	v_fma_f64 v[0:1], v[60:61], v[2:3], -v[0:1]
	global_store_dwordx4 v[12:13], v[8:11], off
	v_mul_f64 v[6:7], v[0:1], s[0:1]
	v_mad_u64_u32 v[8:9], s[4:5], s8, v76, v[12:13]
	s_waitcnt vmcnt(9)
	v_mul_f64 v[0:1], v[46:47], v[66:67]
	v_mul_f64 v[2:3], v[44:45], v[66:67]
	;; [unrolled: 1-line block ×3, first 2 shown]
	v_add_u32_e32 v9, s2, v9
	v_fmac_f64_e32 v[0:1], v[44:45], v[64:65]
	v_fma_f64 v[2:3], v[64:65], v[46:47], -v[2:3]
	global_store_dwordx4 v[8:9], v[4:7], off
	v_mul_f64 v[0:1], v[0:1], s[0:1]
	v_mul_f64 v[2:3], v[2:3], s[0:1]
	v_mad_u64_u32 v[4:5], s[0:1], s8, v76, v[8:9]
	v_add_u32_e32 v5, s2, v5
	global_store_dwordx4 v[4:5], v[0:3], off
.LBB0_23:
	s_endpgm
	.section	.rodata,"a",@progbits
	.p2align	6, 0x0
	.amdhsa_kernel bluestein_single_fwd_len660_dim1_dp_op_CI_CI
		.amdhsa_group_segment_fixed_size 10560
		.amdhsa_private_segment_fixed_size 0
		.amdhsa_kernarg_size 104
		.amdhsa_user_sgpr_count 6
		.amdhsa_user_sgpr_private_segment_buffer 1
		.amdhsa_user_sgpr_dispatch_ptr 0
		.amdhsa_user_sgpr_queue_ptr 0
		.amdhsa_user_sgpr_kernarg_segment_ptr 1
		.amdhsa_user_sgpr_dispatch_id 0
		.amdhsa_user_sgpr_flat_scratch_init 0
		.amdhsa_user_sgpr_kernarg_preload_length 0
		.amdhsa_user_sgpr_kernarg_preload_offset 0
		.amdhsa_user_sgpr_private_segment_size 0
		.amdhsa_uses_dynamic_stack 0
		.amdhsa_system_sgpr_private_segment_wavefront_offset 0
		.amdhsa_system_sgpr_workgroup_id_x 1
		.amdhsa_system_sgpr_workgroup_id_y 0
		.amdhsa_system_sgpr_workgroup_id_z 0
		.amdhsa_system_sgpr_workgroup_info 0
		.amdhsa_system_vgpr_workitem_id 0
		.amdhsa_next_free_vgpr 306
		.amdhsa_next_free_sgpr 44
		.amdhsa_accum_offset 256
		.amdhsa_reserve_vcc 1
		.amdhsa_reserve_flat_scratch 0
		.amdhsa_float_round_mode_32 0
		.amdhsa_float_round_mode_16_64 0
		.amdhsa_float_denorm_mode_32 3
		.amdhsa_float_denorm_mode_16_64 3
		.amdhsa_dx10_clamp 1
		.amdhsa_ieee_mode 1
		.amdhsa_fp16_overflow 0
		.amdhsa_tg_split 0
		.amdhsa_exception_fp_ieee_invalid_op 0
		.amdhsa_exception_fp_denorm_src 0
		.amdhsa_exception_fp_ieee_div_zero 0
		.amdhsa_exception_fp_ieee_overflow 0
		.amdhsa_exception_fp_ieee_underflow 0
		.amdhsa_exception_fp_ieee_inexact 0
		.amdhsa_exception_int_div_zero 0
	.end_amdhsa_kernel
	.text
.Lfunc_end0:
	.size	bluestein_single_fwd_len660_dim1_dp_op_CI_CI, .Lfunc_end0-bluestein_single_fwd_len660_dim1_dp_op_CI_CI
                                        ; -- End function
	.section	.AMDGPU.csdata,"",@progbits
; Kernel info:
; codeLenInByte = 14460
; NumSgprs: 48
; NumVgprs: 256
; NumAgprs: 50
; TotalNumVgprs: 306
; ScratchSize: 0
; MemoryBound: 0
; FloatMode: 240
; IeeeMode: 1
; LDSByteSize: 10560 bytes/workgroup (compile time only)
; SGPRBlocks: 5
; VGPRBlocks: 38
; NumSGPRsForWavesPerEU: 48
; NumVGPRsForWavesPerEU: 306
; AccumOffset: 256
; Occupancy: 1
; WaveLimiterHint : 1
; COMPUTE_PGM_RSRC2:SCRATCH_EN: 0
; COMPUTE_PGM_RSRC2:USER_SGPR: 6
; COMPUTE_PGM_RSRC2:TRAP_HANDLER: 0
; COMPUTE_PGM_RSRC2:TGID_X_EN: 1
; COMPUTE_PGM_RSRC2:TGID_Y_EN: 0
; COMPUTE_PGM_RSRC2:TGID_Z_EN: 0
; COMPUTE_PGM_RSRC2:TIDIG_COMP_CNT: 0
; COMPUTE_PGM_RSRC3_GFX90A:ACCUM_OFFSET: 63
; COMPUTE_PGM_RSRC3_GFX90A:TG_SPLIT: 0
	.text
	.p2alignl 6, 3212836864
	.fill 256, 4, 3212836864
	.type	__hip_cuid_a461b2c881e9b58b,@object ; @__hip_cuid_a461b2c881e9b58b
	.section	.bss,"aw",@nobits
	.globl	__hip_cuid_a461b2c881e9b58b
__hip_cuid_a461b2c881e9b58b:
	.byte	0                               ; 0x0
	.size	__hip_cuid_a461b2c881e9b58b, 1

	.ident	"AMD clang version 19.0.0git (https://github.com/RadeonOpenCompute/llvm-project roc-6.4.0 25133 c7fe45cf4b819c5991fe208aaa96edf142730f1d)"
	.section	".note.GNU-stack","",@progbits
	.addrsig
	.addrsig_sym __hip_cuid_a461b2c881e9b58b
	.amdgpu_metadata
---
amdhsa.kernels:
  - .agpr_count:     50
    .args:
      - .actual_access:  read_only
        .address_space:  global
        .offset:         0
        .size:           8
        .value_kind:     global_buffer
      - .actual_access:  read_only
        .address_space:  global
        .offset:         8
        .size:           8
        .value_kind:     global_buffer
      - .actual_access:  read_only
        .address_space:  global
        .offset:         16
        .size:           8
        .value_kind:     global_buffer
      - .actual_access:  read_only
        .address_space:  global
        .offset:         24
        .size:           8
        .value_kind:     global_buffer
      - .actual_access:  read_only
        .address_space:  global
        .offset:         32
        .size:           8
        .value_kind:     global_buffer
      - .offset:         40
        .size:           8
        .value_kind:     by_value
      - .address_space:  global
        .offset:         48
        .size:           8
        .value_kind:     global_buffer
      - .address_space:  global
        .offset:         56
        .size:           8
        .value_kind:     global_buffer
      - .address_space:  global
        .offset:         64
        .size:           8
        .value_kind:     global_buffer
      - .address_space:  global
        .offset:         72
        .size:           8
        .value_kind:     global_buffer
      - .offset:         80
        .size:           4
        .value_kind:     by_value
      - .address_space:  global
        .offset:         88
        .size:           8
        .value_kind:     global_buffer
      - .address_space:  global
        .offset:         96
        .size:           8
        .value_kind:     global_buffer
    .group_segment_fixed_size: 10560
    .kernarg_segment_align: 8
    .kernarg_segment_size: 104
    .language:       OpenCL C
    .language_version:
      - 2
      - 0
    .max_flat_workgroup_size: 110
    .name:           bluestein_single_fwd_len660_dim1_dp_op_CI_CI
    .private_segment_fixed_size: 0
    .sgpr_count:     48
    .sgpr_spill_count: 0
    .symbol:         bluestein_single_fwd_len660_dim1_dp_op_CI_CI.kd
    .uniform_work_group_size: 1
    .uses_dynamic_stack: false
    .vgpr_count:     306
    .vgpr_spill_count: 0
    .wavefront_size: 64
amdhsa.target:   amdgcn-amd-amdhsa--gfx90a
amdhsa.version:
  - 1
  - 2
...

	.end_amdgpu_metadata
